;; amdgpu-corpus repo=ROCm/rocFFT kind=compiled arch=gfx906 opt=O3
	.text
	.amdgcn_target "amdgcn-amd-amdhsa--gfx906"
	.amdhsa_code_object_version 6
	.protected	fft_rtc_fwd_len1690_factors_13_10_13_wgs_169_tpt_169_dp_ip_CI_sbrr_dirReg ; -- Begin function fft_rtc_fwd_len1690_factors_13_10_13_wgs_169_tpt_169_dp_ip_CI_sbrr_dirReg
	.globl	fft_rtc_fwd_len1690_factors_13_10_13_wgs_169_tpt_169_dp_ip_CI_sbrr_dirReg
	.p2align	8
	.type	fft_rtc_fwd_len1690_factors_13_10_13_wgs_169_tpt_169_dp_ip_CI_sbrr_dirReg,@function
fft_rtc_fwd_len1690_factors_13_10_13_wgs_169_tpt_169_dp_ip_CI_sbrr_dirReg: ; @fft_rtc_fwd_len1690_factors_13_10_13_wgs_169_tpt_169_dp_ip_CI_sbrr_dirReg
; %bb.0:
	s_load_dwordx2 s[14:15], s[4:5], 0x18
	s_load_dwordx4 s[8:11], s[4:5], 0x0
	s_load_dwordx2 s[12:13], s[4:5], 0x50
	v_mul_u32_u24_e32 v1, 0x184, v0
	v_add_u32_sdwa v5, s6, v1 dst_sel:DWORD dst_unused:UNUSED_PAD src0_sel:DWORD src1_sel:WORD_1
	s_waitcnt lgkmcnt(0)
	s_load_dwordx2 s[2:3], s[14:15], 0x0
	v_cmp_lt_u64_e64 s[0:1], s[10:11], 2
	v_mov_b32_e32 v3, 0
	v_mov_b32_e32 v1, 0
	;; [unrolled: 1-line block ×3, first 2 shown]
	s_and_b64 vcc, exec, s[0:1]
	v_mov_b32_e32 v2, 0
	s_cbranch_vccnz .LBB0_8
; %bb.1:
	s_load_dwordx2 s[0:1], s[4:5], 0x10
	s_add_u32 s6, s14, 8
	s_addc_u32 s7, s15, 0
	v_mov_b32_e32 v1, 0
	v_mov_b32_e32 v2, 0
	s_waitcnt lgkmcnt(0)
	s_add_u32 s16, s0, 8
	s_addc_u32 s17, s1, 0
	s_mov_b64 s[18:19], 1
.LBB0_2:                                ; =>This Inner Loop Header: Depth=1
	s_load_dwordx2 s[20:21], s[16:17], 0x0
                                        ; implicit-def: $vgpr7_vgpr8
	s_waitcnt lgkmcnt(0)
	v_or_b32_e32 v4, s21, v6
	v_cmp_ne_u64_e32 vcc, 0, v[3:4]
	s_and_saveexec_b64 s[0:1], vcc
	s_xor_b64 s[22:23], exec, s[0:1]
	s_cbranch_execz .LBB0_4
; %bb.3:                                ;   in Loop: Header=BB0_2 Depth=1
	v_cvt_f32_u32_e32 v4, s20
	v_cvt_f32_u32_e32 v7, s21
	s_sub_u32 s0, 0, s20
	s_subb_u32 s1, 0, s21
	v_mac_f32_e32 v4, 0x4f800000, v7
	v_rcp_f32_e32 v4, v4
	v_mul_f32_e32 v4, 0x5f7ffffc, v4
	v_mul_f32_e32 v7, 0x2f800000, v4
	v_trunc_f32_e32 v7, v7
	v_mac_f32_e32 v4, 0xcf800000, v7
	v_cvt_u32_f32_e32 v7, v7
	v_cvt_u32_f32_e32 v4, v4
	v_mul_lo_u32 v8, s0, v7
	v_mul_hi_u32 v9, s0, v4
	v_mul_lo_u32 v11, s1, v4
	v_mul_lo_u32 v10, s0, v4
	v_add_u32_e32 v8, v9, v8
	v_add_u32_e32 v8, v8, v11
	v_mul_hi_u32 v9, v4, v10
	v_mul_lo_u32 v11, v4, v8
	v_mul_hi_u32 v13, v4, v8
	v_mul_hi_u32 v12, v7, v10
	v_mul_lo_u32 v10, v7, v10
	v_mul_hi_u32 v14, v7, v8
	v_add_co_u32_e32 v9, vcc, v9, v11
	v_addc_co_u32_e32 v11, vcc, 0, v13, vcc
	v_mul_lo_u32 v8, v7, v8
	v_add_co_u32_e32 v9, vcc, v9, v10
	v_addc_co_u32_e32 v9, vcc, v11, v12, vcc
	v_addc_co_u32_e32 v10, vcc, 0, v14, vcc
	v_add_co_u32_e32 v8, vcc, v9, v8
	v_addc_co_u32_e32 v9, vcc, 0, v10, vcc
	v_add_co_u32_e32 v4, vcc, v4, v8
	v_addc_co_u32_e32 v7, vcc, v7, v9, vcc
	v_mul_lo_u32 v8, s0, v7
	v_mul_hi_u32 v9, s0, v4
	v_mul_lo_u32 v10, s1, v4
	v_mul_lo_u32 v11, s0, v4
	v_add_u32_e32 v8, v9, v8
	v_add_u32_e32 v8, v8, v10
	v_mul_lo_u32 v12, v4, v8
	v_mul_hi_u32 v13, v4, v11
	v_mul_hi_u32 v14, v4, v8
	;; [unrolled: 1-line block ×3, first 2 shown]
	v_mul_lo_u32 v11, v7, v11
	v_mul_hi_u32 v9, v7, v8
	v_add_co_u32_e32 v12, vcc, v13, v12
	v_addc_co_u32_e32 v13, vcc, 0, v14, vcc
	v_mul_lo_u32 v8, v7, v8
	v_add_co_u32_e32 v11, vcc, v12, v11
	v_addc_co_u32_e32 v10, vcc, v13, v10, vcc
	v_addc_co_u32_e32 v9, vcc, 0, v9, vcc
	v_add_co_u32_e32 v8, vcc, v10, v8
	v_addc_co_u32_e32 v9, vcc, 0, v9, vcc
	v_add_co_u32_e32 v4, vcc, v4, v8
	v_addc_co_u32_e32 v9, vcc, v7, v9, vcc
	v_mad_u64_u32 v[7:8], s[0:1], v5, v9, 0
	v_mul_hi_u32 v10, v5, v4
	v_add_co_u32_e32 v11, vcc, v10, v7
	v_addc_co_u32_e32 v12, vcc, 0, v8, vcc
	v_mad_u64_u32 v[7:8], s[0:1], v6, v4, 0
	v_mad_u64_u32 v[9:10], s[0:1], v6, v9, 0
	v_add_co_u32_e32 v4, vcc, v11, v7
	v_addc_co_u32_e32 v4, vcc, v12, v8, vcc
	v_addc_co_u32_e32 v7, vcc, 0, v10, vcc
	v_add_co_u32_e32 v4, vcc, v4, v9
	v_addc_co_u32_e32 v9, vcc, 0, v7, vcc
	v_mul_lo_u32 v10, s21, v4
	v_mul_lo_u32 v11, s20, v9
	v_mad_u64_u32 v[7:8], s[0:1], s20, v4, 0
	v_add3_u32 v8, v8, v11, v10
	v_sub_u32_e32 v10, v6, v8
	v_mov_b32_e32 v11, s21
	v_sub_co_u32_e32 v7, vcc, v5, v7
	v_subb_co_u32_e64 v10, s[0:1], v10, v11, vcc
	v_subrev_co_u32_e64 v11, s[0:1], s20, v7
	v_subbrev_co_u32_e64 v10, s[0:1], 0, v10, s[0:1]
	v_cmp_le_u32_e64 s[0:1], s21, v10
	v_cndmask_b32_e64 v12, 0, -1, s[0:1]
	v_cmp_le_u32_e64 s[0:1], s20, v11
	v_cndmask_b32_e64 v11, 0, -1, s[0:1]
	v_cmp_eq_u32_e64 s[0:1], s21, v10
	v_cndmask_b32_e64 v10, v12, v11, s[0:1]
	v_add_co_u32_e64 v11, s[0:1], 2, v4
	v_addc_co_u32_e64 v12, s[0:1], 0, v9, s[0:1]
	v_add_co_u32_e64 v13, s[0:1], 1, v4
	v_addc_co_u32_e64 v14, s[0:1], 0, v9, s[0:1]
	v_subb_co_u32_e32 v8, vcc, v6, v8, vcc
	v_cmp_ne_u32_e64 s[0:1], 0, v10
	v_cmp_le_u32_e32 vcc, s21, v8
	v_cndmask_b32_e64 v10, v14, v12, s[0:1]
	v_cndmask_b32_e64 v12, 0, -1, vcc
	v_cmp_le_u32_e32 vcc, s20, v7
	v_cndmask_b32_e64 v7, 0, -1, vcc
	v_cmp_eq_u32_e32 vcc, s21, v8
	v_cndmask_b32_e32 v7, v12, v7, vcc
	v_cmp_ne_u32_e32 vcc, 0, v7
	v_cndmask_b32_e64 v7, v13, v11, s[0:1]
	v_cndmask_b32_e32 v8, v9, v10, vcc
	v_cndmask_b32_e32 v7, v4, v7, vcc
.LBB0_4:                                ;   in Loop: Header=BB0_2 Depth=1
	s_andn2_saveexec_b64 s[0:1], s[22:23]
	s_cbranch_execz .LBB0_6
; %bb.5:                                ;   in Loop: Header=BB0_2 Depth=1
	v_cvt_f32_u32_e32 v4, s20
	s_sub_i32 s22, 0, s20
	v_rcp_iflag_f32_e32 v4, v4
	v_mul_f32_e32 v4, 0x4f7ffffe, v4
	v_cvt_u32_f32_e32 v4, v4
	v_mul_lo_u32 v7, s22, v4
	v_mul_hi_u32 v7, v4, v7
	v_add_u32_e32 v4, v4, v7
	v_mul_hi_u32 v4, v5, v4
	v_mul_lo_u32 v7, v4, s20
	v_add_u32_e32 v8, 1, v4
	v_sub_u32_e32 v7, v5, v7
	v_subrev_u32_e32 v9, s20, v7
	v_cmp_le_u32_e32 vcc, s20, v7
	v_cndmask_b32_e32 v7, v7, v9, vcc
	v_cndmask_b32_e32 v4, v4, v8, vcc
	v_add_u32_e32 v8, 1, v4
	v_cmp_le_u32_e32 vcc, s20, v7
	v_cndmask_b32_e32 v7, v4, v8, vcc
	v_mov_b32_e32 v8, v3
.LBB0_6:                                ;   in Loop: Header=BB0_2 Depth=1
	s_or_b64 exec, exec, s[0:1]
	v_mul_lo_u32 v4, v8, s20
	v_mul_lo_u32 v11, v7, s21
	v_mad_u64_u32 v[9:10], s[0:1], v7, s20, 0
	s_load_dwordx2 s[0:1], s[6:7], 0x0
	s_add_u32 s18, s18, 1
	v_add3_u32 v4, v10, v11, v4
	v_sub_co_u32_e32 v5, vcc, v5, v9
	v_subb_co_u32_e32 v4, vcc, v6, v4, vcc
	s_waitcnt lgkmcnt(0)
	v_mul_lo_u32 v4, s0, v4
	v_mul_lo_u32 v6, s1, v5
	v_mad_u64_u32 v[1:2], s[0:1], s0, v5, v[1:2]
	s_addc_u32 s19, s19, 0
	s_add_u32 s6, s6, 8
	v_add3_u32 v2, v6, v2, v4
	v_mov_b32_e32 v4, s10
	v_mov_b32_e32 v5, s11
	s_addc_u32 s7, s7, 0
	v_cmp_ge_u64_e32 vcc, s[18:19], v[4:5]
	s_add_u32 s16, s16, 8
	s_addc_u32 s17, s17, 0
	s_cbranch_vccnz .LBB0_9
; %bb.7:                                ;   in Loop: Header=BB0_2 Depth=1
	v_mov_b32_e32 v5, v7
	v_mov_b32_e32 v6, v8
	s_branch .LBB0_2
.LBB0_8:
	v_mov_b32_e32 v8, v6
	v_mov_b32_e32 v7, v5
.LBB0_9:
	s_lshl_b64 s[0:1], s[10:11], 3
	s_add_u32 s0, s14, s0
	s_addc_u32 s1, s15, s1
	s_load_dwordx2 s[6:7], s[0:1], 0x0
	s_load_dwordx2 s[10:11], s[4:5], 0x20
	s_movk_i32 s4, 0x82
                                        ; implicit-def: $vgpr14_vgpr15
                                        ; implicit-def: $vgpr18_vgpr19
                                        ; implicit-def: $vgpr22_vgpr23
                                        ; implicit-def: $vgpr26_vgpr27
                                        ; implicit-def: $vgpr30_vgpr31
                                        ; implicit-def: $vgpr34_vgpr35
                                        ; implicit-def: $vgpr42_vgpr43
                                        ; implicit-def: $vgpr46_vgpr47
                                        ; implicit-def: $vgpr50_vgpr51
                                        ; implicit-def: $vgpr54_vgpr55
                                        ; implicit-def: $vgpr58_vgpr59
                                        ; implicit-def: $vgpr62_vgpr63
                                        ; implicit-def: $vgpr38_vgpr39
	s_waitcnt lgkmcnt(0)
	v_mad_u64_u32 v[1:2], s[0:1], s6, v7, v[1:2]
	s_mov_b32 s0, 0x183c978
	v_mul_lo_u32 v3, s6, v8
	v_mul_lo_u32 v4, s7, v7
	v_mul_hi_u32 v5, v0, s0
	v_cmp_gt_u64_e64 s[0:1], s[10:11], v[7:8]
	v_add3_u32 v2, v4, v2, v3
	v_mul_u32_u24_e32 v3, 0xa9, v5
	v_sub_u32_e32 v200, v0, v3
	v_cmp_gt_u32_e32 vcc, s4, v200
	v_lshlrev_b64 v[68:69], 4, v[1:2]
	s_and_b64 s[4:5], s[0:1], vcc
	s_and_saveexec_b64 s[6:7], s[4:5]
	s_cbranch_execz .LBB0_11
; %bb.10:
	v_mad_u64_u32 v[0:1], s[0:1], s2, v200, 0
	v_add_u32_e32 v5, 0x82, v200
	v_mov_b32_e32 v4, s13
	v_mad_u64_u32 v[1:2], s[0:1], s3, v200, v[1:2]
	v_mad_u64_u32 v[2:3], s[0:1], s2, v5, 0
	v_add_co_u32_e64 v20, s[0:1], s12, v68
	v_addc_co_u32_e64 v21, s[0:1], v4, v69, s[0:1]
	v_mad_u64_u32 v[3:4], s[0:1], s3, v5, v[3:4]
	v_add_u32_e32 v6, 0x104, v200
	v_mad_u64_u32 v[4:5], s[0:1], s2, v6, 0
	v_lshlrev_b64 v[0:1], 4, v[0:1]
	v_add_u32_e32 v8, 0x186, v200
	v_add_co_u32_e64 v0, s[0:1], v20, v0
	v_addc_co_u32_e64 v1, s[0:1], v21, v1, s[0:1]
	v_mad_u64_u32 v[5:6], s[0:1], s3, v6, v[5:6]
	v_mad_u64_u32 v[6:7], s[0:1], s2, v8, 0
	v_lshlrev_b64 v[2:3], 4, v[2:3]
	v_add_u32_e32 v10, 0x208, v200
	v_add_co_u32_e64 v2, s[0:1], v20, v2
	v_addc_co_u32_e64 v3, s[0:1], v21, v3, s[0:1]
	v_mad_u64_u32 v[7:8], s[0:1], s3, v8, v[7:8]
	;; [unrolled: 6-line block ×6, first 2 shown]
	v_mad_u64_u32 v[16:17], s[0:1], s2, v18, 0
	v_lshlrev_b64 v[12:13], 4, v[12:13]
	v_add_co_u32_e64 v64, s[0:1], v20, v12
	v_addc_co_u32_e64 v65, s[0:1], v21, v13, s[0:1]
	v_lshlrev_b64 v[12:13], 4, v[14:15]
	v_mov_b32_e32 v14, v17
	v_mad_u64_u32 v[14:15], s[0:1], s3, v18, v[14:15]
	v_add_u32_e32 v15, 0x492, v200
	v_mad_u64_u32 v[18:19], s[0:1], s2, v15, 0
	v_add_co_u32_e64 v66, s[0:1], v20, v12
	v_mov_b32_e32 v17, v14
	v_mov_b32_e32 v14, v19
	v_addc_co_u32_e64 v67, s[0:1], v21, v13, s[0:1]
	v_lshlrev_b64 v[12:13], 4, v[16:17]
	v_mad_u64_u32 v[14:15], s[0:1], s3, v15, v[14:15]
	v_add_u32_e32 v17, 0x514, v200
	v_mad_u64_u32 v[15:16], s[0:1], s2, v17, 0
	v_add_co_u32_e64 v70, s[0:1], v20, v12
	v_mov_b32_e32 v19, v14
	v_mov_b32_e32 v14, v16
	v_addc_co_u32_e64 v71, s[0:1], v21, v13, s[0:1]
	v_lshlrev_b64 v[12:13], 4, v[18:19]
	v_mad_u64_u32 v[16:17], s[0:1], s3, v17, v[14:15]
	v_add_u32_e32 v19, 0x596, v200
	v_mad_u64_u32 v[17:18], s[0:1], s2, v19, 0
	v_add_co_u32_e64 v72, s[0:1], v20, v12
	v_mov_b32_e32 v14, v18
	v_addc_co_u32_e64 v73, s[0:1], v21, v13, s[0:1]
	v_lshlrev_b64 v[12:13], 4, v[15:16]
	v_mad_u64_u32 v[14:15], s[0:1], s3, v19, v[14:15]
	v_add_u32_e32 v19, 0x618, v200
	v_mad_u64_u32 v[15:16], s[0:1], s2, v19, 0
	v_add_co_u32_e64 v74, s[0:1], v20, v12
	v_mov_b32_e32 v18, v14
	v_mov_b32_e32 v14, v16
	v_addc_co_u32_e64 v75, s[0:1], v21, v13, s[0:1]
	v_lshlrev_b64 v[12:13], 4, v[17:18]
	v_mad_u64_u32 v[16:17], s[0:1], s3, v19, v[14:15]
	v_add_co_u32_e64 v76, s[0:1], v20, v12
	v_addc_co_u32_e64 v77, s[0:1], v21, v13, s[0:1]
	v_lshlrev_b64 v[12:13], 4, v[15:16]
	v_add_co_u32_e64 v78, s[0:1], v20, v12
	v_addc_co_u32_e64 v79, s[0:1], v21, v13, s[0:1]
	global_load_dwordx4 v[36:39], v[0:1], off
	global_load_dwordx4 v[60:63], v[2:3], off
	;; [unrolled: 1-line block ×13, first 2 shown]
.LBB0_11:
	s_or_b64 exec, exec, s[6:7]
	s_waitcnt vmcnt(0)
	v_add_f64 v[84:85], v[12:13], v[60:61]
	s_mov_b32 s0, 0xe00740e9
	s_mov_b32 s1, 0x3fec55a7
	v_add_f64 v[94:95], v[62:63], -v[14:15]
	v_add_f64 v[92:93], v[16:17], v[56:57]
	v_add_f64 v[124:125], v[60:61], -v[12:13]
	s_mov_b32 s40, 0x4267c47c
	s_mov_b32 s6, 0x1ea71119
	v_mul_f64 v[70:71], v[84:85], s[0:1]
	s_mov_b32 s41, 0xbfddbe06
	s_mov_b32 s7, 0x3fe22d96
	v_add_f64 v[112:113], v[58:59], -v[18:19]
	v_add_f64 v[102:103], v[14:15], v[62:63]
	v_add_f64 v[126:127], v[56:57], -v[16:17]
	v_mul_f64 v[72:73], v[92:93], s[6:7]
	v_mul_f64 v[74:75], v[124:125], s[40:41]
	v_fma_f64 v[0:1], v[94:95], s[40:41], v[70:71]
	v_add_f64 v[106:107], v[20:21], v[52:53]
	s_mov_b32 s10, 0x42a4c3d2
	s_mov_b32 s14, 0xebaa3ed8
	;; [unrolled: 1-line block ×4, first 2 shown]
	v_add_f64 v[104:105], v[18:19], v[58:59]
	v_mul_f64 v[78:79], v[126:127], s[10:11]
	v_fma_f64 v[2:3], v[112:113], s[10:11], v[72:73]
	v_fma_f64 v[4:5], v[102:103], s[0:1], -v[74:75]
	v_add_f64 v[0:1], v[36:37], v[0:1]
	v_add_f64 v[130:131], v[54:55], -v[22:23]
	v_mul_f64 v[76:77], v[106:107], s[14:15]
	v_add_f64 v[158:159], v[52:53], -v[20:21]
	s_mov_b32 s20, 0x66966769
	s_mov_b32 s21, 0xbfefc445
	v_fma_f64 v[6:7], v[104:105], s[6:7], -v[78:79]
	v_add_f64 v[4:5], v[38:39], v[4:5]
	v_add_f64 v[0:1], v[2:3], v[0:1]
	;; [unrolled: 1-line block ×3, first 2 shown]
	v_fma_f64 v[2:3], v[130:131], s[20:21], v[76:77]
	v_add_f64 v[128:129], v[22:23], v[54:55]
	v_mul_f64 v[82:83], v[158:159], s[20:21]
	v_add_f64 v[182:183], v[48:49], -v[24:25]
	s_mov_b32 s18, 0xb2365da1
	s_mov_b32 s28, 0x2ef20147
	;; [unrolled: 1-line block ×4, first 2 shown]
	v_add_f64 v[136:137], v[50:51], -v[26:27]
	v_mul_f64 v[80:81], v[114:115], s[18:19]
	v_add_f64 v[4:5], v[6:7], v[4:5]
	v_add_f64 v[0:1], v[2:3], v[0:1]
	v_fma_f64 v[2:3], v[128:129], s[14:15], -v[82:83]
	v_add_f64 v[122:123], v[28:29], v[44:45]
	v_add_f64 v[148:149], v[26:27], v[50:51]
	v_mul_f64 v[88:89], v[182:183], s[28:29]
	v_add_f64 v[190:191], v[44:45], -v[28:29]
	s_mov_b32 s22, 0xd0032e0c
	s_mov_b32 s30, 0x24c2f84
	;; [unrolled: 1-line block ×6, first 2 shown]
	v_fma_f64 v[6:7], v[136:137], s[28:29], v[80:81]
	v_add_f64 v[144:145], v[46:47], -v[30:31]
	v_mul_f64 v[86:87], v[122:123], s[22:23]
	v_add_f64 v[2:3], v[2:3], v[4:5]
	v_fma_f64 v[4:5], v[148:149], s[18:19], -v[88:89]
	v_add_f64 v[162:163], v[30:31], v[46:47]
	v_mul_f64 v[90:91], v[190:191], s[24:25]
	v_mul_f64 v[100:101], v[84:85], s[6:7]
	v_add_f64 v[0:1], v[6:7], v[0:1]
	v_mul_f64 v[150:151], v[124:125], s[10:11]
	v_fma_f64 v[6:7], v[144:145], s[24:25], v[86:87]
	v_mul_f64 v[108:109], v[92:93], s[18:19]
	v_add_f64 v[2:3], v[4:5], v[2:3]
	v_mul_f64 v[118:119], v[126:127], s[28:29]
	v_fma_f64 v[4:5], v[162:163], s[22:23], -v[90:91]
	s_mov_b32 s26, 0x93053d00
	s_mov_b32 s27, 0xbfef11f4
	;; [unrolled: 1-line block ×3, first 2 shown]
	v_add_f64 v[0:1], v[6:7], v[0:1]
	v_fma_f64 v[6:7], v[102:103], s[6:7], -v[150:151]
	s_mov_b32 s34, 0x4bc48dbf
	v_fma_f64 v[8:9], v[112:113], s[28:29], v[108:109]
	v_add_f64 v[2:3], v[4:5], v[2:3]
	v_fma_f64 v[4:5], v[94:95], s[10:11], v[100:101]
	v_fma_f64 v[10:11], v[104:105], s[18:19], -v[118:119]
	v_mul_f64 v[110:111], v[106:107], s[26:27]
	v_mul_f64 v[120:121], v[158:159], s[34:35]
	v_add_f64 v[6:7], v[38:39], v[6:7]
	v_mul_f64 v[140:141], v[84:85], s[14:15]
	v_mul_f64 v[196:197], v[124:125], s[20:21]
	;; [unrolled: 1-line block ×3, first 2 shown]
	v_add_f64 v[4:5], v[36:37], v[4:5]
	v_mul_f64 v[138:139], v[182:183], s[30:31]
	v_mul_f64 v[142:143], v[92:93], s[26:27]
	;; [unrolled: 1-line block ×3, first 2 shown]
	v_add_f64 v[6:7], v[10:11], v[6:7]
	v_fma_f64 v[10:11], v[128:129], s[26:27], -v[120:121]
	v_fma_f64 v[132:133], v[94:95], s[20:21], v[140:141]
	v_fma_f64 v[134:135], v[102:103], s[14:15], -v[196:197]
	v_add_f64 v[4:5], v[8:9], v[4:5]
	v_fma_f64 v[8:9], v[130:131], s[34:35], v[110:111]
	s_mov_b32 s43, 0x3fedeba7
	s_mov_b32 s42, s28
	v_fma_f64 v[152:153], v[112:113], s[34:35], v[142:143]
	v_add_f64 v[6:7], v[10:11], v[6:7]
	v_fma_f64 v[10:11], v[148:149], s[22:23], -v[138:139]
	v_add_f64 v[132:133], v[36:37], v[132:133]
	v_add_f64 v[134:135], v[38:39], v[134:135]
	;; [unrolled: 1-line block ×3, first 2 shown]
	v_fma_f64 v[8:9], v[136:137], s[30:31], v[116:117]
	v_fma_f64 v[154:155], v[104:105], s[26:27], -v[198:199]
	v_mul_f64 v[146:147], v[106:107], s[18:19]
	v_mul_f64 v[164:165], v[158:159], s[42:43]
	s_mov_b32 s37, 0x3fddbe06
	s_mov_b32 s36, s40
	v_add_f64 v[6:7], v[10:11], v[6:7]
	v_mul_f64 v[168:169], v[182:183], s[36:37]
	v_add_f64 v[4:5], v[8:9], v[4:5]
	v_add_f64 v[8:9], v[152:153], v[132:133]
	;; [unrolled: 1-line block ×3, first 2 shown]
	v_fma_f64 v[134:135], v[130:131], s[42:43], v[146:147]
	v_fma_f64 v[156:157], v[128:129], s[18:19], -v[164:165]
	v_mul_f64 v[152:153], v[114:115], s[0:1]
	s_mov_b32 s39, 0x3fefc445
	s_mov_b32 s38, s20
	v_add_f64 v[172:173], v[32:33], v[40:41]
	v_add_f64 v[188:189], v[40:41], -v[32:33]
	v_mul_f64 v[132:133], v[122:123], s[14:15]
	v_mul_f64 v[154:155], v[190:191], s[38:39]
	v_add_f64 v[8:9], v[134:135], v[8:9]
	v_add_f64 v[10:11], v[156:157], v[10:11]
	v_fma_f64 v[166:167], v[136:137], s[36:37], v[152:153]
	v_fma_f64 v[174:175], v[148:149], s[0:1], -v[168:169]
	v_mul_f64 v[156:157], v[122:123], s[6:7]
	v_mul_f64 v[170:171], v[190:191], s[10:11]
	v_add_f64 v[186:187], v[42:43], -v[34:35]
	v_mul_f64 v[96:97], v[172:173], s[26:27]
	v_add_f64 v[184:185], v[34:35], v[42:43]
	v_mul_f64 v[98:99], v[188:189], s[34:35]
	v_fma_f64 v[176:177], v[144:145], s[38:39], v[132:133]
	v_fma_f64 v[178:179], v[162:163], s[14:15], -v[154:155]
	v_mul_f64 v[134:135], v[172:173], s[0:1]
	v_mul_f64 v[160:161], v[188:189], s[36:37]
	v_add_f64 v[8:9], v[166:167], v[8:9]
	v_add_f64 v[10:11], v[174:175], v[10:11]
	v_fma_f64 v[180:181], v[144:145], s[10:11], v[156:157]
	v_fma_f64 v[192:193], v[162:163], s[6:7], -v[170:171]
	v_mul_f64 v[166:167], v[172:173], s[22:23]
	v_mul_f64 v[174:175], v[188:189], s[24:25]
	v_fma_f64 v[64:65], v[186:187], s[34:35], v[96:97]
	v_fma_f64 v[66:67], v[184:185], s[26:27], -v[98:99]
	v_add_f64 v[4:5], v[176:177], v[4:5]
	v_add_f64 v[6:7], v[178:179], v[6:7]
	v_fma_f64 v[176:177], v[186:187], s[36:37], v[134:135]
	v_fma_f64 v[178:179], v[184:185], s[0:1], -v[160:161]
	v_add_f64 v[180:181], v[180:181], v[8:9]
	v_add_f64 v[192:193], v[192:193], v[10:11]
	;; [unrolled: 4-line block ×3, first 2 shown]
	v_add_f64 v[4:5], v[176:177], v[4:5]
	v_add_f64 v[6:7], v[178:179], v[6:7]
	v_add_f64 v[0:1], v[194:195], v[180:181]
	v_add_f64 v[2:3], v[201:202], v[192:193]
	s_and_saveexec_b64 s[16:17], vcc
	s_cbranch_execz .LBB0_13
; %bb.12:
	v_mul_f64 v[64:65], v[124:125], s[34:35]
	v_mul_f64 v[66:67], v[94:95], s[34:35]
	;; [unrolled: 1-line block ×7, first 2 shown]
	s_mov_b32 s41, 0x3fea55e2
	v_fma_f64 v[203:204], v[102:103], s[26:27], -v[64:65]
	v_fma_f64 v[221:222], v[84:85], s[26:27], v[66:67]
	v_fma_f64 v[223:224], v[104:105], s[0:1], -v[201:202]
	v_fma_f64 v[229:230], v[92:93], s[0:1], v[207:208]
	s_mov_b32 s40, s10
	v_mul_f64 v[225:226], v[182:183], s[40:41]
	v_fma_f64 v[231:232], v[128:129], s[22:23], -v[205:206]
	v_fma_f64 v[64:65], v[102:103], s[26:27], v[64:65]
	v_add_f64 v[203:204], v[38:39], v[203:204]
	v_add_f64 v[221:222], v[36:37], v[221:222]
	v_mul_f64 v[235:236], v[136:137], s[40:41]
	v_fma_f64 v[237:238], v[106:107], s[22:23], v[227:228]
	v_fma_f64 v[201:202], v[104:105], s[0:1], v[201:202]
	v_mul_f64 v[239:240], v[144:145], s[28:29]
	v_mul_f64 v[233:234], v[190:191], s[28:29]
	v_add_f64 v[64:65], v[38:39], v[64:65]
	v_add_f64 v[203:204], v[223:224], v[203:204]
	;; [unrolled: 1-line block ×3, first 2 shown]
	v_fma_f64 v[229:230], v[148:149], s[6:7], -v[225:226]
	v_fma_f64 v[241:242], v[114:115], s[6:7], v[235:236]
	v_fma_f64 v[66:67], v[84:85], s[26:27], -v[66:67]
	v_fma_f64 v[205:206], v[128:129], s[22:23], v[205:206]
	v_fma_f64 v[207:208], v[92:93], s[0:1], -v[207:208]
	v_add_f64 v[64:65], v[201:202], v[64:65]
	v_add_f64 v[203:204], v[231:232], v[203:204]
	;; [unrolled: 1-line block ×3, first 2 shown]
	v_mul_f64 v[201:202], v[186:187], s[38:39]
	v_mul_f64 v[231:232], v[188:189], s[38:39]
	v_fma_f64 v[237:238], v[162:163], s[18:19], -v[233:234]
	v_add_f64 v[66:67], v[36:37], v[66:67]
	v_fma_f64 v[225:226], v[148:149], s[6:7], v[225:226]
	v_add_f64 v[64:65], v[205:206], v[64:65]
	v_add_f64 v[203:204], v[229:230], v[203:204]
	v_fma_f64 v[229:230], v[122:123], s[18:19], v[239:240]
	v_add_f64 v[221:222], v[241:242], v[221:222]
	v_fma_f64 v[205:206], v[172:173], s[14:15], v[201:202]
	v_fma_f64 v[241:242], v[184:185], s[14:15], -v[231:232]
	v_fma_f64 v[227:228], v[106:107], s[22:23], -v[227:228]
	v_add_f64 v[207:208], v[207:208], v[66:67]
	v_fma_f64 v[233:234], v[162:163], s[18:19], v[233:234]
	v_add_f64 v[203:204], v[237:238], v[203:204]
	v_add_f64 v[225:226], v[225:226], v[64:65]
	;; [unrolled: 1-line block ×3, first 2 shown]
	v_mul_f64 v[237:238], v[124:125], s[24:25]
	v_mul_f64 v[243:244], v[130:131], s[10:11]
	;; [unrolled: 1-line block ×3, first 2 shown]
	v_add_f64 v[207:208], v[227:228], v[207:208]
	v_mul_f64 v[227:228], v[126:127], s[38:39]
	v_add_f64 v[66:67], v[241:242], v[203:204]
	v_fma_f64 v[203:204], v[114:115], s[6:7], -v[235:236]
	v_add_f64 v[64:65], v[205:206], v[221:222]
	v_mul_f64 v[205:206], v[94:95], s[24:25]
	v_fma_f64 v[221:222], v[184:185], s[14:15], v[231:232]
	v_add_f64 v[225:226], v[233:234], v[225:226]
	v_fma_f64 v[231:232], v[102:103], s[22:23], -v[237:238]
	v_fma_f64 v[233:234], v[122:123], s[18:19], -v[239:240]
	v_mul_f64 v[235:236], v[112:113], s[38:39]
	v_fma_f64 v[241:242], v[104:105], s[14:15], -v[227:228]
	v_mul_f64 v[223:224], v[130:131], s[34:35]
	v_fma_f64 v[239:240], v[84:85], s[22:23], v[205:206]
	v_mul_f64 v[229:230], v[186:187], s[34:35]
	s_mov_b32 s35, 0x3fcea1e5
	v_add_f64 v[231:232], v[38:39], v[231:232]
	v_add_f64 v[203:204], v[203:204], v[207:208]
	v_fma_f64 v[245:246], v[92:93], s[14:15], v[235:236]
	v_fma_f64 v[251:252], v[106:107], s[6:7], v[243:244]
	v_mul_f64 v[207:208], v[158:159], s[10:11]
	v_add_f64 v[239:240], v[36:37], v[239:240]
	v_fma_f64 v[227:228], v[104:105], s[14:15], v[227:228]
	v_fma_f64 v[205:206], v[84:85], s[22:23], -v[205:206]
	v_add_f64 v[231:232], v[241:242], v[231:232]
	v_mul_f64 v[241:242], v[136:137], s[34:35]
	v_add_f64 v[233:234], v[233:234], v[203:204]
	v_add_f64 v[203:204], v[221:222], v[225:226]
	v_fma_f64 v[221:222], v[102:103], s[22:23], v[237:238]
	v_add_f64 v[239:240], v[245:246], v[239:240]
	v_mul_f64 v[245:246], v[144:145], s[36:37]
	v_fma_f64 v[201:202], v[172:173], s[14:15], -v[201:202]
	v_mul_f64 v[247:248], v[182:183], s[34:35]
	v_fma_f64 v[237:238], v[114:115], s[26:27], v[241:242]
	v_fma_f64 v[249:250], v[128:129], s[6:7], -v[207:208]
	v_fma_f64 v[207:208], v[128:129], s[6:7], v[207:208]
	v_add_f64 v[221:222], v[38:39], v[221:222]
	v_add_f64 v[239:240], v[251:252], v[239:240]
	v_fma_f64 v[235:236], v[92:93], s[14:15], -v[235:236]
	v_add_f64 v[205:206], v[36:37], v[205:206]
	v_add_f64 v[201:202], v[201:202], v[233:234]
	v_mul_f64 v[225:226], v[190:191], s[36:37]
	v_fma_f64 v[233:234], v[148:149], s[26:27], -v[247:248]
	v_add_f64 v[231:232], v[249:250], v[231:232]
	v_add_f64 v[221:222], v[227:228], v[221:222]
	;; [unrolled: 1-line block ×3, first 2 shown]
	v_fma_f64 v[239:240], v[122:123], s[0:1], v[245:246]
	v_fma_f64 v[247:248], v[148:149], s[26:27], v[247:248]
	v_fma_f64 v[243:244], v[106:107], s[6:7], -v[243:244]
	v_add_f64 v[205:206], v[235:236], v[205:206]
	v_mul_f64 v[235:236], v[126:127], s[30:31]
	v_mul_f64 v[178:179], v[94:95], s[10:11]
	v_add_f64 v[207:208], v[207:208], v[221:222]
	v_mul_f64 v[211:212], v[94:95], s[20:21]
	v_add_f64 v[237:238], v[239:240], v[237:238]
	v_mul_f64 v[239:240], v[124:125], s[28:29]
	v_fma_f64 v[251:252], v[162:163], s[0:1], -v[225:226]
	v_add_f64 v[231:232], v[233:234], v[231:232]
	v_mul_f64 v[233:234], v[188:189], s[28:29]
	v_mul_f64 v[227:228], v[186:187], s[28:29]
	v_add_f64 v[207:208], v[247:248], v[207:208]
	v_add_f64 v[205:206], v[243:244], v[205:206]
	v_fma_f64 v[243:244], v[104:105], s[22:23], -v[235:236]
	v_fma_f64 v[253:254], v[102:103], s[18:19], -v[239:240]
	v_mul_f64 v[158:159], v[158:159], s[36:37]
	v_fma_f64 v[225:226], v[162:163], s[0:1], v[225:226]
	v_mul_f64 v[94:95], v[94:95], s[28:29]
	v_mul_f64 v[180:181], v[102:103], s[0:1]
	;; [unrolled: 1-line block ×5, first 2 shown]
	v_add_f64 v[247:248], v[38:39], v[253:254]
	v_mul_f64 v[215:216], v[112:113], s[28:29]
	v_add_f64 v[231:232], v[251:252], v[231:232]
	v_fma_f64 v[251:252], v[184:185], s[18:19], -v[233:234]
	v_fma_f64 v[124:125], v[172:173], s[18:19], v[227:228]
	v_fma_f64 v[241:242], v[114:115], s[26:27], -v[241:242]
	v_mul_f64 v[182:183], v[182:183], s[20:21]
	v_add_f64 v[207:208], v[225:226], v[207:208]
	v_add_f64 v[243:244], v[243:244], v[247:248]
	v_fma_f64 v[247:248], v[128:129], s[0:1], -v[158:159]
	v_fma_f64 v[225:226], v[172:173], s[18:19], -v[227:228]
	v_mul_f64 v[112:113], v[112:113], s[30:31]
	v_fma_f64 v[227:228], v[84:85], s[18:19], v[94:95]
	v_fma_f64 v[102:103], v[102:103], s[18:19], v[239:240]
	v_mul_f64 v[194:195], v[104:105], s[6:7]
	v_mul_f64 v[217:218], v[104:105], s[18:19]
	;; [unrolled: 1-line block ×4, first 2 shown]
	v_add_f64 v[126:127], v[251:252], v[231:232]
	v_mul_f64 v[251:252], v[130:131], s[42:43]
	v_fma_f64 v[233:234], v[184:185], s[18:19], v[233:234]
	v_fma_f64 v[245:246], v[122:123], s[0:1], -v[245:246]
	v_add_f64 v[205:206], v[241:242], v[205:206]
	v_fma_f64 v[241:242], v[148:149], s[14:15], -v[182:183]
	v_add_f64 v[243:244], v[247:248], v[243:244]
	v_mul_f64 v[130:131], v[130:131], s[36:37]
	v_fma_f64 v[247:248], v[92:93], s[22:23], v[112:113]
	v_add_f64 v[227:228], v[36:37], v[227:228]
	v_fma_f64 v[104:105], v[104:105], s[22:23], v[235:236]
	v_add_f64 v[102:103], v[38:39], v[102:103]
	v_add_f64 v[124:125], v[124:125], v[237:238]
	v_mul_f64 v[231:232], v[128:129], s[14:15]
	v_mul_f64 v[237:238], v[128:129], s[26:27]
	v_add_f64 v[205:206], v[245:246], v[205:206]
	v_mul_f64 v[245:246], v[128:129], s[18:19]
	v_add_f64 v[207:208], v[233:234], v[207:208]
	v_add_f64 v[233:234], v[241:242], v[243:244]
	v_fma_f64 v[243:244], v[106:107], s[0:1], v[130:131]
	v_add_f64 v[227:228], v[247:248], v[227:228]
	v_mul_f64 v[239:240], v[136:137], s[20:21]
	v_fma_f64 v[128:129], v[128:129], s[0:1], v[158:159]
	v_fma_f64 v[84:85], v[84:85], s[18:19], -v[94:95]
	v_add_f64 v[102:103], v[104:105], v[102:103]
	v_mul_f64 v[190:191], v[190:191], s[34:35]
	v_mul_f64 v[247:248], v[148:149], s[18:19]
	;; [unrolled: 1-line block ×3, first 2 shown]
	v_add_f64 v[227:228], v[243:244], v[227:228]
	v_fma_f64 v[243:244], v[114:115], s[14:15], v[239:240]
	v_mul_f64 v[158:159], v[148:149], s[0:1]
	v_fma_f64 v[92:93], v[92:93], s[22:23], -v[112:113]
	v_add_f64 v[84:85], v[36:37], v[84:85]
	v_fma_f64 v[148:149], v[148:149], s[14:15], v[182:183]
	v_add_f64 v[102:103], v[128:129], v[102:103]
	v_mul_f64 v[94:95], v[144:145], s[24:25]
	v_mul_f64 v[182:183], v[144:145], s[10:11]
	v_add_f64 v[227:228], v[243:244], v[227:228]
	v_mul_f64 v[243:244], v[144:145], s[38:39]
	v_mul_f64 v[188:189], v[188:189], s[40:41]
	v_fma_f64 v[106:107], v[106:107], s[0:1], -v[130:131]
	v_add_f64 v[84:85], v[92:93], v[84:85]
	v_mul_f64 v[92:93], v[144:145], s[34:35]
	v_fma_f64 v[144:145], v[162:163], s[26:27], v[190:191]
	v_add_f64 v[102:103], v[148:149], v[102:103]
	v_add_f64 v[62:63], v[62:63], v[38:39]
	;; [unrolled: 1-line block ×3, first 2 shown]
	v_fma_f64 v[241:242], v[162:163], s[26:27], -v[190:191]
	v_mul_f64 v[104:105], v[162:163], s[22:23]
	v_mul_f64 v[112:113], v[162:163], s[14:15]
	;; [unrolled: 1-line block ×5, first 2 shown]
	v_fma_f64 v[148:149], v[184:185], s[6:7], -v[188:189]
	v_fma_f64 v[114:115], v[114:115], s[14:15], -v[239:240]
	v_add_f64 v[106:107], v[106:107], v[84:85]
	v_fma_f64 v[188:189], v[184:185], s[6:7], v[188:189]
	v_add_f64 v[102:103], v[144:145], v[102:103]
	v_mul_f64 v[144:145], v[184:185], s[22:23]
	v_add_f64 v[184:185], v[213:214], v[196:197]
	v_add_f64 v[58:59], v[58:59], v[62:63]
	;; [unrolled: 1-line block ×3, first 2 shown]
	v_fma_f64 v[239:240], v[122:123], s[26:27], v[92:93]
	v_fma_f64 v[122:123], v[122:123], s[26:27], -v[92:93]
	v_add_f64 v[106:107], v[114:115], v[106:107]
	v_add_f64 v[92:93], v[188:189], v[102:103]
	;; [unrolled: 1-line block ×7, first 2 shown]
	v_add_f64 v[140:141], v[140:141], -v[211:212]
	v_add_f64 v[106:107], v[122:123], v[106:107]
	v_add_f64 v[122:123], v[245:246], v[164:165]
	;; [unrolled: 1-line block ×8, first 2 shown]
	v_add_f64 v[62:63], v[142:143], -v[219:220]
	v_add_f64 v[140:141], v[36:37], v[140:141]
	v_add_f64 v[120:121], v[237:238], v[120:121]
	;; [unrolled: 1-line block ×7, first 2 shown]
	v_add_f64 v[58:59], v[146:147], -v[251:252]
	v_add_f64 v[62:63], v[62:63], v[140:141]
	v_add_f64 v[74:75], v[180:181], v[74:75]
	;; [unrolled: 1-line block ×7, first 2 shown]
	v_add_f64 v[44:45], v[70:71], -v[176:177]
	v_add_f64 v[58:59], v[58:59], v[62:63]
	v_add_f64 v[46:47], v[100:101], -v[178:179]
	v_add_f64 v[56:57], v[56:57], v[60:61]
	v_add_f64 v[60:61], v[112:113], v[154:155]
	;; [unrolled: 1-line block ×7, first 2 shown]
	v_add_f64 v[72:73], v[72:73], -v[192:193]
	v_add_f64 v[40:41], v[36:37], v[44:45]
	v_add_f64 v[36:37], v[36:37], v[46:47]
	;; [unrolled: 1-line block ×3, first 2 shown]
	v_add_f64 v[62:63], v[108:109], -v[215:216]
	v_add_f64 v[44:45], v[231:232], v[82:83]
	v_add_f64 v[38:39], v[70:71], v[38:39]
	v_add_f64 v[30:31], v[30:31], v[34:35]
	v_add_f64 v[28:29], v[28:29], v[32:33]
	v_add_f64 v[205:206], v[225:226], v[205:206]
	v_mul_f64 v[225:226], v[136:137], s[28:29]
	v_add_f64 v[46:47], v[76:77], -v[221:222]
	v_add_f64 v[32:33], v[72:73], v[40:41]
	v_add_f64 v[233:234], v[241:242], v[233:234]
	v_mul_f64 v[241:242], v[136:137], s[30:31]
	v_add_f64 v[42:43], v[110:111], -v[223:224]
	v_add_f64 v[34:35], v[62:63], v[36:37]
	v_mul_f64 v[136:137], v[136:137], s[36:37]
	v_add_f64 v[40:41], v[247:248], v[88:89]
	v_add_f64 v[38:39], v[44:45], v[38:39]
	;; [unrolled: 1-line block ×4, first 2 shown]
	v_add_f64 v[44:45], v[80:81], -v[225:226]
	v_add_f64 v[28:29], v[46:47], v[32:33]
	v_add_f64 v[36:37], v[116:117], -v[241:242]
	v_add_f64 v[30:31], v[42:43], v[34:35]
	;; [unrolled: 2-line block ×3, first 2 shown]
	v_add_f64 v[38:39], v[40:41], v[38:39]
	v_add_f64 v[22:23], v[22:23], v[26:27]
	;; [unrolled: 1-line block ×3, first 2 shown]
	v_add_f64 v[40:41], v[86:87], -v[94:95]
	v_add_f64 v[24:25], v[44:45], v[28:29]
	v_mul_f64 v[253:254], v[186:187], s[36:37]
	v_add_f64 v[32:33], v[132:133], -v[243:244]
	v_add_f64 v[26:27], v[36:37], v[30:31]
	v_mul_f64 v[190:191], v[186:187], s[40:41]
	v_mul_f64 v[186:187], v[186:187], s[24:25]
	v_add_f64 v[50:51], v[156:157], -v[182:183]
	v_add_f64 v[54:55], v[54:55], v[58:59]
	v_add_f64 v[28:29], v[130:131], v[98:99]
	;; [unrolled: 1-line block ×5, first 2 shown]
	v_add_f64 v[36:37], v[96:97], -v[229:230]
	v_add_f64 v[38:39], v[40:41], v[24:25]
	v_add_f64 v[58:59], v[162:163], v[160:161]
	v_add_f64 v[30:31], v[134:135], -v[253:254]
	v_add_f64 v[32:33], v[32:33], v[26:27]
	v_add_f64 v[52:53], v[144:145], v[174:175]
	;; [unrolled: 3-line block ×3, first 2 shown]
	v_fma_f64 v[148:149], v[172:173], s[6:7], v[190:191]
	v_fma_f64 v[172:173], v[172:173], s[6:7], -v[190:191]
	v_add_f64 v[196:197], v[239:240], v[227:228]
	v_add_f64 v[24:25], v[28:29], v[34:35]
	;; [unrolled: 1-line block ×10, first 2 shown]
	s_movk_i32 s0, 0xd0
	v_mad_u32_u24 v12, v200, s0, 0
	v_add_f64 v[82:83], v[148:149], v[196:197]
	ds_write_b128 v12, v[26:29]
	ds_write_b128 v12, v[22:25] offset:16
	ds_write_b128 v12, v[18:21] offset:32
	;; [unrolled: 1-line block ×12, first 2 shown]
.LBB0_13:
	s_or_b64 exec, exec, s[16:17]
	s_movk_i32 s0, 0x4f
	v_mul_lo_u16_sdwa v12, v200, s0 dst_sel:DWORD dst_unused:UNUSED_PAD src0_sel:BYTE_0 src1_sel:DWORD
	v_lshrrev_b16_e32 v67, 10, v12
	v_mul_lo_u16_e32 v12, 13, v67
	v_sub_u16_e32 v110, v200, v12
	v_mov_b32_e32 v12, 9
	v_mul_u32_u24_sdwa v12, v110, v12 dst_sel:DWORD dst_unused:UNUSED_PAD src0_sel:BYTE_0 src1_sel:DWORD
	v_lshlrev_b32_e32 v48, 4, v12
	s_waitcnt lgkmcnt(0)
	s_barrier
	global_load_dwordx4 v[12:15], v48, s[8:9]
	global_load_dwordx4 v[16:19], v48, s[8:9] offset:16
	global_load_dwordx4 v[20:23], v48, s[8:9] offset:32
	;; [unrolled: 1-line block ×8, first 2 shown]
	v_lshl_add_u32 v52, v200, 4, 0
	ds_read_b128 v[48:51], v52
	ds_read_b128 v[53:56], v52 offset:2704
	ds_read_b128 v[57:60], v52 offset:5408
	;; [unrolled: 1-line block ×9, first 2 shown]
	s_mov_b32 s0, 0x134454ff
	s_mov_b32 s1, 0x3fee6f0e
	;; [unrolled: 1-line block ×12, first 2 shown]
	s_waitcnt vmcnt(0) lgkmcnt(0)
	s_barrier
	v_mul_f64 v[65:66], v[55:56], v[14:15]
	v_mul_f64 v[14:15], v[53:54], v[14:15]
	;; [unrolled: 1-line block ×18, first 2 shown]
	v_fma_f64 v[53:54], v[53:54], v[12:13], -v[65:66]
	v_fma_f64 v[12:13], v[55:56], v[12:13], v[14:15]
	v_fma_f64 v[14:15], v[57:58], v[16:17], -v[94:95]
	v_fma_f64 v[16:17], v[59:60], v[16:17], v[18:19]
	;; [unrolled: 2-line block ×6, first 2 shown]
	v_fma_f64 v[34:35], v[88:89], v[40:41], v[42:43]
	v_fma_f64 v[42:43], v[82:83], v[36:37], -v[104:105]
	v_fma_f64 v[36:37], v[84:85], v[36:37], v[38:39]
	v_fma_f64 v[38:39], v[86:87], v[40:41], -v[106:107]
	v_fma_f64 v[40:41], v[90:91], v[44:45], -v[108:109]
	v_fma_f64 v[44:45], v[92:93], v[44:45], v[46:47]
	v_add_f64 v[46:47], v[48:49], v[14:15]
	v_add_f64 v[55:56], v[22:23], v[30:31]
	v_add_f64 v[61:62], v[14:15], -v[22:23]
	v_add_f64 v[74:75], v[50:51], v[16:17]
	v_add_f64 v[76:77], v[24:25], v[32:33]
	v_add_f64 v[63:64], v[38:39], -v[30:31]
	v_add_f64 v[65:66], v[14:15], v[38:39]
	v_add_f64 v[57:58], v[16:17], -v[34:35]
	v_add_f64 v[59:60], v[24:25], -v[32:33]
	;; [unrolled: 1-line block ×7, first 2 shown]
	v_add_f64 v[84:85], v[16:17], v[34:35]
	v_add_f64 v[16:17], v[24:25], -v[16:17]
	v_add_f64 v[90:91], v[26:27], v[42:43]
	v_add_f64 v[22:23], v[46:47], v[22:23]
	v_fma_f64 v[46:47], v[55:56], -0.5, v[48:49]
	v_add_f64 v[55:56], v[61:62], v[63:64]
	v_fma_f64 v[48:49], v[65:66], -0.5, v[48:49]
	;; [unrolled: 2-line block ×3, first 2 shown]
	v_add_f64 v[82:83], v[34:35], -v[32:33]
	v_add_f64 v[86:87], v[32:33], -v[34:35]
	;; [unrolled: 1-line block ×3, first 2 shown]
	v_add_f64 v[61:62], v[70:71], v[72:73]
	v_fma_f64 v[50:51], v[84:85], -0.5, v[50:51]
	v_fma_f64 v[72:73], v[90:91], -0.5, v[53:54]
	v_add_f64 v[22:23], v[22:23], v[30:31]
	v_fma_f64 v[30:31], v[57:58], s[0:1], v[46:47]
	v_fma_f64 v[46:47], v[57:58], s[14:15], v[46:47]
	;; [unrolled: 1-line block ×4, first 2 shown]
	v_add_f64 v[24:25], v[24:25], v[32:33]
	v_fma_f64 v[32:33], v[14:15], s[14:15], v[63:64]
	v_fma_f64 v[63:64], v[14:15], s[0:1], v[63:64]
	v_add_f64 v[88:89], v[53:54], v[18:19]
	v_add_f64 v[94:95], v[28:29], -v[36:37]
	v_add_f64 v[96:97], v[18:19], -v[26:27]
	v_add_f64 v[98:99], v[18:19], v[40:41]
	v_add_f64 v[65:66], v[80:81], v[82:83]
	v_fma_f64 v[76:77], v[78:79], s[0:1], v[50:51]
	v_fma_f64 v[50:51], v[78:79], s[14:15], v[50:51]
	;; [unrolled: 1-line block ×7, first 2 shown]
	v_add_f64 v[38:39], v[22:23], v[38:39]
	v_add_f64 v[34:35], v[24:25], v[34:35]
	v_fma_f64 v[22:23], v[78:79], s[6:7], v[63:64]
	v_add_f64 v[24:25], v[40:41], -v[42:43]
	v_add_f64 v[70:71], v[88:89], v[26:27]
	v_fma_f64 v[32:33], v[78:79], s[16:17], v[32:33]
	v_fma_f64 v[57:58], v[55:56], s[10:11], v[30:31]
	;; [unrolled: 1-line block ×6, first 2 shown]
	v_add_f64 v[16:17], v[16:17], v[86:87]
	v_fma_f64 v[61:62], v[65:66], s[10:11], v[22:23]
	v_fma_f64 v[22:23], v[98:99], -0.5, v[53:54]
	v_fma_f64 v[14:15], v[14:15], s[6:7], v[50:51]
	v_fma_f64 v[50:51], v[94:95], s[6:7], v[80:81]
	v_add_f64 v[24:25], v[96:97], v[24:25]
	v_add_f64 v[53:54], v[28:29], v[36:37]
	v_fma_f64 v[59:60], v[65:66], s[10:11], v[32:33]
	v_add_f64 v[32:33], v[70:71], v[42:43]
	v_fma_f64 v[63:64], v[16:17], s[10:11], v[30:31]
	v_fma_f64 v[30:31], v[92:93], s[14:15], v[72:73]
	;; [unrolled: 1-line block ×3, first 2 shown]
	v_add_f64 v[14:15], v[20:21], v[44:45]
	v_fma_f64 v[16:17], v[24:25], s[10:11], v[50:51]
	v_fma_f64 v[50:51], v[53:54], -0.5, v[12:13]
	v_add_f64 v[53:54], v[18:19], -v[40:41]
	v_add_f64 v[32:33], v[32:33], v[40:41]
	v_add_f64 v[72:73], v[12:13], v[20:21]
	v_add_f64 v[74:75], v[26:27], -v[42:43]
	v_fma_f64 v[65:66], v[94:95], s[14:15], v[22:23]
	v_fma_f64 v[12:13], v[14:15], -0.5, v[12:13]
	v_add_f64 v[14:15], v[26:27], -v[18:19]
	v_add_f64 v[18:19], v[42:43], -v[40:41]
	v_fma_f64 v[26:27], v[53:54], s[14:15], v[50:51]
	v_add_f64 v[40:41], v[20:21], -v[28:29]
	v_add_f64 v[42:43], v[44:45], -v[36:37]
	v_fma_f64 v[22:23], v[94:95], s[0:1], v[22:23]
	v_add_f64 v[72:73], v[72:73], v[28:29]
	v_fma_f64 v[76:77], v[74:75], s[0:1], v[12:13]
	v_add_f64 v[20:21], v[28:29], -v[20:21]
	v_add_f64 v[28:29], v[36:37], -v[44:45]
	v_fma_f64 v[26:27], v[74:75], s[16:17], v[26:27]
	v_fma_f64 v[50:51], v[53:54], s[0:1], v[50:51]
	v_add_f64 v[40:41], v[40:41], v[42:43]
	v_fma_f64 v[12:13], v[74:75], s[14:15], v[12:13]
	v_fma_f64 v[30:31], v[94:95], s[16:17], v[30:31]
	;; [unrolled: 1-line block ×3, first 2 shown]
	v_add_f64 v[14:15], v[14:15], v[18:19]
	v_fma_f64 v[18:19], v[92:93], s[16:17], v[22:23]
	v_fma_f64 v[22:23], v[53:54], s[16:17], v[76:77]
	v_add_f64 v[20:21], v[20:21], v[28:29]
	v_add_f64 v[28:29], v[72:73], v[36:37]
	v_fma_f64 v[36:37], v[74:75], s[6:7], v[50:51]
	v_fma_f64 v[26:27], v[40:41], s[10:11], v[26:27]
	;; [unrolled: 1-line block ×7, first 2 shown]
	v_add_f64 v[42:43], v[28:29], v[44:45]
	v_fma_f64 v[22:23], v[40:41], s[10:11], v[36:37]
	v_mul_f64 v[28:29], v[26:27], s[6:7]
	v_fma_f64 v[20:21], v[20:21], s[10:11], v[12:13]
	v_mul_f64 v[44:45], v[24:25], s[18:19]
	v_mul_f64 v[53:54], v[30:31], s[14:15]
	;; [unrolled: 1-line block ×4, first 2 shown]
	v_add_f64 v[12:13], v[38:39], v[32:33]
	v_mul_f64 v[72:73], v[22:23], s[18:19]
	v_fma_f64 v[50:51], v[16:17], s[18:19], v[28:29]
	v_mul_f64 v[28:29], v[16:17], s[16:17]
	v_mul_f64 v[65:66], v[20:21], s[10:11]
	v_fma_f64 v[78:79], v[22:23], s[6:7], -v[44:45]
	v_fma_f64 v[76:77], v[20:21], s[0:1], -v[40:41]
	v_fma_f64 v[74:75], v[30:31], s[10:11], v[36:37]
	v_fma_f64 v[53:54], v[18:19], s[10:11], v[53:54]
	v_fma_f64 v[72:73], v[24:25], s[16:17], -v[72:73]
	v_add_f64 v[16:17], v[57:58], v[50:51]
	v_fma_f64 v[80:81], v[26:27], s[18:19], v[28:29]
	v_fma_f64 v[65:66], v[14:15], s[14:15], -v[65:66]
	v_add_f64 v[28:29], v[46:47], v[78:79]
	v_add_f64 v[24:25], v[48:49], v[76:77]
	;; [unrolled: 1-line block ×8, first 2 shown]
	v_add_f64 v[32:33], v[38:39], -v[32:33]
	v_add_f64 v[36:37], v[57:58], -v[50:51]
	v_add_f64 v[40:41], v[55:56], -v[74:75]
	v_add_f64 v[44:45], v[48:49], -v[76:77]
	v_add_f64 v[48:49], v[46:47], -v[78:79]
	v_add_f64 v[34:35], v[34:35], -v[42:43]
	v_add_f64 v[38:39], v[59:60], -v[80:81]
	v_add_f64 v[42:43], v[63:64], -v[53:54]
	v_add_f64 v[46:47], v[70:71], -v[65:66]
	v_add_f64 v[50:51], v[61:62], -v[72:73]
	v_mov_b32_e32 v54, 4
	v_mul_u32_u24_e32 v53, 0x820, v67
	v_lshlrev_b32_sdwa v54, v54, v110 dst_sel:DWORD dst_unused:UNUSED_PAD src0_sel:DWORD src1_sel:BYTE_0
	v_add3_u32 v53, 0, v53, v54
	ds_write_b128 v53, v[12:15]
	ds_write_b128 v53, v[16:19] offset:208
	ds_write_b128 v53, v[20:23] offset:416
	;; [unrolled: 1-line block ×9, first 2 shown]
	s_waitcnt lgkmcnt(0)
	s_barrier
	s_and_saveexec_b64 s[0:1], vcc
	s_cbranch_execnz .LBB0_16
; %bb.14:
	s_or_b64 exec, exec, s[0:1]
	s_and_saveexec_b64 s[0:1], s[4:5]
	s_cbranch_execnz .LBB0_17
.LBB0_15:
	s_endpgm
.LBB0_16:
	ds_read_b128 v[12:15], v52
	ds_read_b128 v[16:19], v52 offset:2080
	ds_read_b128 v[20:23], v52 offset:4160
	ds_read_b128 v[24:27], v52 offset:6240
	ds_read_b128 v[28:31], v52 offset:8320
	ds_read_b128 v[32:35], v52 offset:10400
	ds_read_b128 v[36:39], v52 offset:12480
	ds_read_b128 v[40:43], v52 offset:14560
	ds_read_b128 v[44:47], v52 offset:16640
	ds_read_b128 v[48:51], v52 offset:18720
	ds_read_b128 v[0:3], v52 offset:20800
	ds_read_b128 v[4:7], v52 offset:22880
	ds_read_b128 v[8:11], v52 offset:24960
	s_or_b64 exec, exec, s[0:1]
	s_and_saveexec_b64 s[0:1], s[4:5]
	s_cbranch_execz .LBB0_15
.LBB0_17:
	v_mul_u32_u24_e32 v52, 12, v200
	v_lshlrev_b32_e32 v56, 4, v52
	global_load_dwordx4 v[52:55], v56, s[8:9] offset:1952
	global_load_dwordx4 v[60:63], v56, s[8:9] offset:1968
	;; [unrolled: 1-line block ×12, first 2 shown]
	s_mov_b32 s18, 0x93053d00
	s_mov_b32 s19, 0xbfef11f4
	;; [unrolled: 1-line block ×34, first 2 shown]
	s_waitcnt vmcnt(11) lgkmcnt(6)
	v_mul_f64 v[56:57], v[38:39], v[52:53]
	s_waitcnt vmcnt(10) lgkmcnt(5)
	v_mul_f64 v[70:71], v[42:43], v[60:61]
	v_mul_f64 v[38:39], v[38:39], v[54:55]
	;; [unrolled: 1-line block ×3, first 2 shown]
	s_waitcnt vmcnt(8) lgkmcnt(4)
	v_mul_f64 v[98:99], v[46:47], v[72:73]
	s_waitcnt vmcnt(7)
	v_mul_f64 v[112:113], v[30:31], v[76:77]
	s_waitcnt vmcnt(6) lgkmcnt(3)
	v_mul_f64 v[114:115], v[50:51], v[80:81]
	v_mul_f64 v[30:31], v[30:31], v[78:79]
	;; [unrolled: 1-line block ×4, first 2 shown]
	s_waitcnt vmcnt(1)
	v_mul_f64 v[126:127], v[18:19], v[104:105]
	s_waitcnt vmcnt(0) lgkmcnt(0)
	v_mul_f64 v[128:129], v[10:11], v[108:109]
	v_mul_f64 v[46:47], v[46:47], v[74:75]
	v_mul_f64 v[116:117], v[50:51], v[82:83]
	v_mul_f64 v[120:121], v[2:3], v[90:91]
	v_mul_f64 v[122:123], v[22:23], v[94:95]
	v_mul_f64 v[124:125], v[6:7], v[100:101]
	v_mul_f64 v[18:19], v[18:19], v[106:107]
	v_mul_f64 v[10:11], v[10:11], v[110:111]
	v_fma_f64 v[58:59], v[36:37], v[54:55], v[56:57]
	v_fma_f64 v[56:57], v[36:37], v[52:53], -v[38:39]
	v_fma_f64 v[52:53], v[40:41], v[60:61], -v[42:43]
	v_fma_f64 v[50:51], v[44:45], v[74:75], v[98:99]
	v_fma_f64 v[78:79], v[28:29], v[78:79], v[112:113]
	;; [unrolled: 1-line block ×3, first 2 shown]
	v_fma_f64 v[74:75], v[28:29], v[76:77], -v[30:31]
	v_fma_f64 v[114:115], v[16:17], v[106:107], v[126:127]
	v_fma_f64 v[28:29], v[8:9], v[110:111], v[128:129]
	v_mul_f64 v[118:119], v[26:27], v[86:87]
	v_mul_f64 v[26:27], v[26:27], v[88:89]
	;; [unrolled: 1-line block ×5, first 2 shown]
	v_fma_f64 v[54:55], v[40:41], v[62:63], v[70:71]
	v_fma_f64 v[70:71], v[32:33], v[66:67], v[84:85]
	v_fma_f64 v[66:67], v[32:33], v[64:65], -v[34:35]
	v_fma_f64 v[38:39], v[0:1], v[92:93], v[120:121]
	v_fma_f64 v[92:93], v[20:21], v[96:97], v[122:123]
	;; [unrolled: 1-line block ×3, first 2 shown]
	v_fma_f64 v[112:113], v[16:17], v[104:105], -v[18:19]
	v_fma_f64 v[30:31], v[8:9], v[108:109], -v[10:11]
	v_add_f64 v[124:125], v[114:115], v[28:29]
	v_fma_f64 v[84:85], v[24:25], v[88:89], v[118:119]
	v_fma_f64 v[82:83], v[24:25], v[86:87], -v[26:27]
	v_fma_f64 v[36:37], v[0:1], v[90:91], -v[2:3]
	v_fma_f64 v[98:99], v[20:21], v[94:95], -v[22:23]
	v_fma_f64 v[32:33], v[4:5], v[100:101], -v[6:7]
	v_add_f64 v[122:123], v[92:93], v[34:35]
	v_add_f64 v[86:87], v[112:113], -v[30:31]
	v_mul_f64 v[0:1], v[124:125], s[18:19]
	v_add_f64 v[106:107], v[114:115], -v[28:29]
	v_fma_f64 v[40:41], v[48:49], v[80:81], -v[116:117]
	v_add_f64 v[120:121], v[84:85], v[38:39]
	v_add_f64 v[102:103], v[92:93], -v[34:35]
	v_add_f64 v[80:81], v[98:99], -v[32:33]
	v_mul_f64 v[2:3], v[122:123], s[20:21]
	v_add_f64 v[90:91], v[112:113], v[30:31]
	v_fma_f64 v[4:5], v[86:87], s[34:35], v[0:1]
	v_mul_f64 v[8:9], v[106:107], s[30:31]
	v_add_f64 v[118:119], v[78:79], v[42:43]
	v_add_f64 v[76:77], v[82:83], -v[36:37]
	v_mul_f64 v[6:7], v[120:121], s[8:9]
	v_add_f64 v[108:109], v[84:85], -v[38:39]
	v_fma_f64 v[10:11], v[80:81], s[22:23], v[2:3]
	v_add_f64 v[96:97], v[98:99], v[32:33]
	v_add_f64 v[4:5], v[14:15], v[4:5]
	v_mul_f64 v[18:19], v[102:103], s[36:37]
	v_fma_f64 v[22:23], v[90:91], s[18:19], v[8:9]
	v_fma_f64 v[0:1], v[86:87], s[30:31], v[0:1]
	v_fma_f64 v[44:45], v[44:45], v[72:73], -v[46:47]
	v_add_f64 v[116:117], v[70:71], v[50:51]
	v_add_f64 v[64:65], v[74:75], -v[40:41]
	v_add_f64 v[110:111], v[78:79], -v[42:43]
	v_mul_f64 v[16:17], v[118:119], s[10:11]
	v_fma_f64 v[20:21], v[76:77], s[24:25], v[6:7]
	v_add_f64 v[4:5], v[10:11], v[4:5]
	v_add_f64 v[88:89], v[82:83], v[36:37]
	v_mul_f64 v[24:25], v[108:109], s[28:29]
	v_fma_f64 v[126:127], v[96:97], s[20:21], v[18:19]
	v_add_f64 v[22:23], v[12:13], v[22:23]
	v_fma_f64 v[2:3], v[80:81], s[36:37], v[2:3]
	v_add_f64 v[0:1], v[14:15], v[0:1]
	v_add_f64 v[104:105], v[58:59], v[54:55]
	v_add_f64 v[60:61], v[66:67], -v[44:45]
	v_add_f64 v[100:101], v[70:71], -v[50:51]
	v_add_f64 v[72:73], v[74:75], v[40:41]
	v_mul_f64 v[10:11], v[116:117], s[0:1]
	v_fma_f64 v[26:27], v[64:65], s[14:15], v[16:17]
	v_add_f64 v[4:5], v[20:21], v[4:5]
	v_mul_f64 v[128:129], v[110:111], s[40:41]
	v_fma_f64 v[132:133], v[88:89], s[8:9], v[24:25]
	v_add_f64 v[22:23], v[126:127], v[22:23]
	v_fma_f64 v[6:7], v[76:77], s[28:29], v[6:7]
	v_fma_f64 v[8:9], v[90:91], s[18:19], -v[8:9]
	v_add_f64 v[0:1], v[2:3], v[0:1]
	v_add_f64 v[46:47], v[56:57], -v[52:53]
	v_add_f64 v[94:95], v[58:59], -v[54:55]
	v_add_f64 v[62:63], v[66:67], v[44:45]
	v_mul_f64 v[20:21], v[104:105], s[4:5]
	v_fma_f64 v[130:131], v[60:61], s[16:17], v[10:11]
	v_add_f64 v[4:5], v[26:27], v[4:5]
	v_mul_f64 v[26:27], v[100:101], s[26:27]
	v_fma_f64 v[2:3], v[72:73], s[10:11], v[128:129]
	v_add_f64 v[22:23], v[132:133], v[22:23]
	v_fma_f64 v[16:17], v[64:65], s[40:41], v[16:17]
	v_fma_f64 v[18:19], v[96:97], s[20:21], -v[18:19]
	v_add_f64 v[8:9], v[12:13], v[8:9]
	v_add_f64 v[0:1], v[6:7], v[0:1]
	;; [unrolled: 1-line block ×3, first 2 shown]
	v_mul_f64 v[126:127], v[94:95], s[38:39]
	v_fma_f64 v[6:7], v[62:63], s[0:1], v[26:27]
	v_add_f64 v[2:3], v[2:3], v[22:23]
	v_fma_f64 v[22:23], v[46:47], s[6:7], v[20:21]
	v_fma_f64 v[10:11], v[60:61], s[26:27], v[10:11]
	v_fma_f64 v[24:25], v[88:89], s[8:9], -v[24:25]
	v_add_f64 v[8:9], v[18:19], v[8:9]
	v_add_f64 v[0:1], v[16:17], v[0:1]
	v_add_f64 v[4:5], v[130:131], v[4:5]
	v_fma_f64 v[16:17], v[48:49], s[4:5], v[126:127]
	v_add_f64 v[6:7], v[6:7], v[2:3]
	v_fma_f64 v[18:19], v[46:47], s[38:39], v[20:21]
	v_fma_f64 v[20:21], v[72:73], s[10:11], -v[128:129]
	v_mul_f64 v[128:129], v[124:125], s[8:9]
	v_add_f64 v[8:9], v[24:25], v[8:9]
	v_add_f64 v[10:11], v[10:11], v[0:1]
	v_add_f64 v[2:3], v[22:23], v[4:5]
	v_mul_f64 v[4:5], v[106:107], s[28:29]
	v_add_f64 v[0:1], v[16:17], v[6:7]
	v_fma_f64 v[16:17], v[62:63], s[0:1], -v[26:27]
	v_mul_f64 v[22:23], v[122:123], s[4:5]
	v_fma_f64 v[24:25], v[86:87], s[24:25], v[128:129]
	v_add_f64 v[8:9], v[20:21], v[8:9]
	v_add_f64 v[6:7], v[18:19], v[10:11]
	v_mul_f64 v[10:11], v[102:103], s[38:39]
	v_fma_f64 v[18:19], v[90:91], s[8:9], v[4:5]
	v_fma_f64 v[20:21], v[48:49], s[4:5], -v[126:127]
	v_mul_f64 v[26:27], v[120:121], s[10:11]
	v_fma_f64 v[126:127], v[80:81], s[6:7], v[22:23]
	v_add_f64 v[24:25], v[14:15], v[24:25]
	v_add_f64 v[8:9], v[16:17], v[8:9]
	v_mul_f64 v[16:17], v[108:109], s[14:15]
	v_fma_f64 v[130:131], v[96:97], s[4:5], v[10:11]
	v_add_f64 v[18:19], v[12:13], v[18:19]
	v_mul_f64 v[132:133], v[118:119], s[18:19]
	v_fma_f64 v[134:135], v[76:77], s[40:41], v[26:27]
	v_fma_f64 v[128:129], v[86:87], s[28:29], v[128:129]
	v_add_f64 v[24:25], v[126:127], v[24:25]
	v_mul_f64 v[136:137], v[110:111], s[34:35]
	v_fma_f64 v[138:139], v[88:89], s[10:11], v[16:17]
	v_mul_f64 v[126:127], v[116:117], s[20:21]
	v_add_f64 v[18:19], v[130:131], v[18:19]
	v_fma_f64 v[130:131], v[64:65], s[30:31], v[132:133]
	v_fma_f64 v[22:23], v[80:81], s[38:39], v[22:23]
	v_add_f64 v[128:129], v[14:15], v[128:129]
	v_add_f64 v[24:25], v[134:135], v[24:25]
	v_mul_f64 v[140:141], v[100:101], s[36:37]
	v_fma_f64 v[142:143], v[72:73], s[18:19], v[136:137]
	v_mul_f64 v[134:135], v[104:105], s[0:1]
	v_add_f64 v[18:19], v[138:139], v[18:19]
	v_fma_f64 v[138:139], v[60:61], s[22:23], v[126:127]
	v_fma_f64 v[26:27], v[76:77], s[14:15], v[26:27]
	v_add_f64 v[22:23], v[22:23], v[128:129]
	v_add_f64 v[24:25], v[130:131], v[24:25]
	v_mul_f64 v[128:129], v[94:95], s[26:27]
	v_fma_f64 v[130:131], v[62:63], s[20:21], v[140:141]
	v_fma_f64 v[4:5], v[90:91], s[8:9], -v[4:5]
	v_add_f64 v[18:19], v[142:143], v[18:19]
	v_fma_f64 v[142:143], v[46:47], s[16:17], v[134:135]
	v_fma_f64 v[132:133], v[64:65], s[34:35], v[132:133]
	v_add_f64 v[22:23], v[26:27], v[22:23]
	v_add_f64 v[24:25], v[138:139], v[24:25]
	v_fma_f64 v[26:27], v[48:49], s[0:1], v[128:129]
	v_fma_f64 v[138:139], v[96:97], s[4:5], -v[10:11]
	v_add_f64 v[144:145], v[12:13], v[4:5]
	v_add_f64 v[18:19], v[130:131], v[18:19]
	;; [unrolled: 1-line block ×3, first 2 shown]
	v_fma_f64 v[20:21], v[60:61], s[36:37], v[126:127]
	v_add_f64 v[22:23], v[132:133], v[22:23]
	v_add_f64 v[10:11], v[142:143], v[24:25]
	v_fma_f64 v[16:17], v[88:89], s[10:11], -v[16:17]
	v_mul_f64 v[24:25], v[124:125], s[0:1]
	v_add_f64 v[126:127], v[138:139], v[144:145]
	v_add_f64 v[8:9], v[26:27], v[18:19]
	v_mul_f64 v[26:27], v[106:107], s[26:27]
	v_fma_f64 v[18:19], v[46:47], s[26:27], v[134:135]
	v_add_f64 v[20:21], v[20:21], v[22:23]
	v_fma_f64 v[22:23], v[72:73], s[18:19], -v[136:137]
	v_mul_f64 v[130:131], v[122:123], s[8:9]
	v_fma_f64 v[132:133], v[86:87], s[16:17], v[24:25]
	v_add_f64 v[16:17], v[16:17], v[126:127]
	v_fma_f64 v[126:127], v[48:49], s[0:1], -v[128:129]
	v_mul_f64 v[128:129], v[102:103], s[24:25]
	v_fma_f64 v[134:135], v[90:91], s[0:1], v[26:27]
	v_fma_f64 v[136:137], v[62:63], s[20:21], -v[140:141]
	v_mul_f64 v[138:139], v[120:121], s[20:21]
	v_fma_f64 v[140:141], v[80:81], s[28:29], v[130:131]
	v_add_f64 v[132:133], v[14:15], v[132:133]
	v_add_f64 v[16:17], v[22:23], v[16:17]
	v_mul_f64 v[142:143], v[108:109], s[36:37]
	v_fma_f64 v[22:23], v[96:97], s[8:9], v[128:129]
	v_add_f64 v[134:135], v[12:13], v[134:135]
	v_mul_f64 v[144:145], v[118:119], s[4:5]
	v_fma_f64 v[24:25], v[86:87], s[26:27], v[24:25]
	v_fma_f64 v[146:147], v[76:77], s[22:23], v[138:139]
	v_add_f64 v[132:133], v[140:141], v[132:133]
	v_mul_f64 v[148:149], v[110:111], s[6:7]
	v_fma_f64 v[150:151], v[88:89], s[20:21], v[142:143]
	v_mul_f64 v[140:141], v[116:117], s[18:19]
	v_add_f64 v[22:23], v[22:23], v[134:135]
	v_fma_f64 v[130:131], v[80:81], s[24:25], v[130:131]
	v_add_f64 v[24:25], v[14:15], v[24:25]
	v_fma_f64 v[134:135], v[64:65], s[38:39], v[144:145]
	v_add_f64 v[132:133], v[146:147], v[132:133]
	v_mul_f64 v[152:153], v[100:101], s[34:35]
	v_fma_f64 v[154:155], v[72:73], s[4:5], v[148:149]
	v_fma_f64 v[138:139], v[76:77], s[36:37], v[138:139]
	v_add_f64 v[22:23], v[150:151], v[22:23]
	v_add_f64 v[16:17], v[136:137], v[16:17]
	;; [unrolled: 1-line block ×3, first 2 shown]
	v_fma_f64 v[130:131], v[60:61], s[30:31], v[140:141]
	v_add_f64 v[132:133], v[134:135], v[132:133]
	v_mul_f64 v[134:135], v[94:95], s[40:41]
	v_fma_f64 v[136:137], v[62:63], s[18:19], v[152:153]
	v_mul_f64 v[146:147], v[104:105], s[10:11]
	v_add_f64 v[150:151], v[154:155], v[22:23]
	v_fma_f64 v[144:145], v[64:65], s[6:7], v[144:145]
	v_add_f64 v[24:25], v[138:139], v[24:25]
	v_fma_f64 v[26:27], v[90:91], s[0:1], -v[26:27]
	v_add_f64 v[130:131], v[130:131], v[132:133]
	v_fma_f64 v[132:133], v[48:49], s[10:11], v[134:135]
	v_add_f64 v[22:23], v[18:19], v[20:21]
	v_fma_f64 v[138:139], v[46:47], s[14:15], v[146:147]
	;; [unrolled: 2-line block ×3, first 2 shown]
	v_add_f64 v[24:25], v[144:145], v[24:25]
	v_add_f64 v[20:21], v[126:127], v[16:17]
	v_fma_f64 v[126:127], v[96:97], s[8:9], -v[128:129]
	v_mul_f64 v[128:129], v[124:125], s[4:5]
	v_add_f64 v[26:27], v[12:13], v[26:27]
	v_add_f64 v[18:19], v[138:139], v[130:131]
	;; [unrolled: 1-line block ×3, first 2 shown]
	v_mul_f64 v[136:137], v[106:107], s[6:7]
	v_fma_f64 v[130:131], v[46:47], s[40:41], v[146:147]
	v_add_f64 v[24:25], v[140:141], v[24:25]
	v_fma_f64 v[132:133], v[88:89], s[20:21], -v[142:143]
	v_mul_f64 v[138:139], v[122:123], s[18:19]
	v_fma_f64 v[140:141], v[86:87], s[38:39], v[128:129]
	v_add_f64 v[26:27], v[126:127], v[26:27]
	v_mul_f64 v[144:145], v[102:103], s[30:31]
	v_fma_f64 v[146:147], v[90:91], s[4:5], v[136:137]
	v_fma_f64 v[126:127], v[48:49], s[10:11], -v[134:135]
	v_fma_f64 v[134:135], v[72:73], s[4:5], -v[148:149]
	v_mul_f64 v[142:143], v[120:121], s[0:1]
	v_fma_f64 v[148:149], v[80:81], s[34:35], v[138:139]
	v_add_f64 v[140:141], v[14:15], v[140:141]
	v_add_f64 v[26:27], v[132:133], v[26:27]
	v_fma_f64 v[132:133], v[62:63], s[18:19], -v[152:153]
	v_mul_f64 v[152:153], v[108:109], s[16:17]
	v_fma_f64 v[154:155], v[96:97], s[18:19], v[144:145]
	v_add_f64 v[146:147], v[12:13], v[146:147]
	v_fma_f64 v[128:129], v[86:87], s[6:7], v[128:129]
	v_mul_f64 v[150:151], v[118:119], s[20:21]
	v_fma_f64 v[156:157], v[76:77], s[26:27], v[142:143]
	v_add_f64 v[140:141], v[148:149], v[140:141]
	v_mul_f64 v[148:149], v[110:111], s[36:37]
	v_fma_f64 v[158:159], v[88:89], s[0:1], v[152:153]
	v_fma_f64 v[138:139], v[80:81], s[30:31], v[138:139]
	v_add_f64 v[146:147], v[154:155], v[146:147]
	v_add_f64 v[128:129], v[14:15], v[128:129]
	;; [unrolled: 1-line block ×3, first 2 shown]
	v_mul_f64 v[134:135], v[116:117], s[10:11]
	v_fma_f64 v[154:155], v[64:65], s[22:23], v[150:151]
	v_add_f64 v[140:141], v[156:157], v[140:141]
	v_mul_f64 v[160:161], v[100:101], s[14:15]
	v_fma_f64 v[162:163], v[72:73], s[20:21], v[148:149]
	v_add_f64 v[146:147], v[158:159], v[146:147]
	v_fma_f64 v[142:143], v[76:77], s[16:17], v[142:143]
	v_add_f64 v[138:139], v[138:139], v[128:129]
	v_add_f64 v[112:113], v[12:13], v[112:113]
	v_mul_f64 v[156:157], v[104:105], s[8:9]
	v_fma_f64 v[158:159], v[60:61], s[40:41], v[134:135]
	v_add_f64 v[140:141], v[154:155], v[140:141]
	v_fma_f64 v[154:155], v[62:63], s[10:11], v[160:161]
	v_add_f64 v[146:147], v[162:163], v[146:147]
	v_add_f64 v[128:129], v[130:131], v[24:25]
	v_fma_f64 v[130:131], v[64:65], s[36:37], v[150:151]
	v_add_f64 v[138:139], v[142:143], v[138:139]
	v_mul_f64 v[150:151], v[106:107], s[14:15]
	v_add_f64 v[114:115], v[14:15], v[114:115]
	v_add_f64 v[98:99], v[98:99], v[112:113]
	;; [unrolled: 1-line block ×3, first 2 shown]
	v_fma_f64 v[162:163], v[46:47], s[24:25], v[156:157]
	v_add_f64 v[140:141], v[158:159], v[140:141]
	v_add_f64 v[142:143], v[154:155], v[146:147]
	;; [unrolled: 1-line block ×3, first 2 shown]
	v_fma_f64 v[138:139], v[46:47], s[28:29], v[156:157]
	v_mul_f64 v[154:155], v[102:103], s[26:27]
	v_fma_f64 v[156:157], v[90:91], s[10:11], v[150:151]
	v_add_f64 v[92:93], v[92:93], v[114:115]
	v_mul_f64 v[132:133], v[94:95], s[28:29]
	v_fma_f64 v[136:137], v[90:91], s[4:5], -v[136:137]
	v_add_f64 v[98:99], v[82:83], v[98:99]
	v_add_f64 v[126:127], v[126:127], v[26:27]
	;; [unrolled: 1-line block ×3, first 2 shown]
	v_mul_f64 v[162:163], v[108:109], s[30:31]
	v_fma_f64 v[164:165], v[96:97], s[0:1], v[154:155]
	v_add_f64 v[156:157], v[12:13], v[156:157]
	v_add_f64 v[92:93], v[84:85], v[92:93]
	v_fma_f64 v[24:25], v[48:49], s[8:9], v[132:133]
	v_fma_f64 v[140:141], v[96:97], s[18:19], -v[144:145]
	v_mul_f64 v[144:145], v[124:125], s[10:11]
	v_add_f64 v[136:137], v[12:13], v[136:137]
	v_add_f64 v[98:99], v[74:75], v[98:99]
	v_mul_f64 v[168:169], v[110:111], s[24:25]
	v_fma_f64 v[170:171], v[88:89], s[18:19], v[162:163]
	v_add_f64 v[156:157], v[164:165], v[156:157]
	v_add_f64 v[78:79], v[78:79], v[92:93]
	v_fma_f64 v[134:135], v[60:61], s[14:15], v[134:135]
	v_add_f64 v[24:25], v[24:25], v[142:143]
	v_mul_f64 v[142:143], v[122:123], s[0:1]
	v_fma_f64 v[146:147], v[88:89], s[0:1], -v[152:153]
	v_fma_f64 v[152:153], v[86:87], s[40:41], v[144:145]
	v_add_f64 v[136:137], v[140:141], v[136:137]
	v_add_f64 v[66:67], v[66:67], v[98:99]
	v_fma_f64 v[164:165], v[72:73], s[8:9], v[168:169]
	v_add_f64 v[156:157], v[170:171], v[156:157]
	v_mul_f64 v[124:125], v[124:125], s[20:21]
	v_add_f64 v[70:71], v[70:71], v[78:79]
	v_mul_f64 v[92:93], v[106:107], s[22:23]
	v_add_f64 v[130:131], v[134:135], v[130:131]
	v_fma_f64 v[134:135], v[72:73], s[20:21], -v[148:149]
	v_mul_f64 v[140:141], v[120:121], s[18:19]
	v_fma_f64 v[148:149], v[80:81], s[16:17], v[142:143]
	v_add_f64 v[152:153], v[14:15], v[152:153]
	v_add_f64 v[136:137], v[146:147], v[136:137]
	;; [unrolled: 1-line block ×3, first 2 shown]
	v_fma_f64 v[144:145], v[86:87], s[14:15], v[144:145]
	v_add_f64 v[156:157], v[164:165], v[156:157]
	v_mul_f64 v[122:123], v[122:123], s[10:11]
	v_fma_f64 v[164:165], v[86:87], s[36:37], v[124:125]
	v_fma_f64 v[86:87], v[86:87], s[22:23], v[124:125]
	v_add_f64 v[58:59], v[58:59], v[70:71]
	v_fma_f64 v[150:151], v[90:91], s[10:11], -v[150:151]
	v_mul_f64 v[78:79], v[102:103], s[14:15]
	v_fma_f64 v[102:103], v[90:91], s[20:21], v[92:93]
	v_fma_f64 v[90:91], v[90:91], s[20:21], -v[92:93]
	v_fma_f64 v[146:147], v[62:63], s[10:11], -v[160:161]
	v_mul_f64 v[158:159], v[118:119], s[8:9]
	v_fma_f64 v[160:161], v[76:77], s[34:35], v[140:141]
	v_add_f64 v[148:149], v[148:149], v[152:153]
	v_add_f64 v[134:135], v[134:135], v[136:137]
	;; [unrolled: 1-line block ×4, first 2 shown]
	v_mul_f64 v[120:121], v[120:121], s[4:5]
	v_add_f64 v[164:165], v[14:15], v[164:165]
	v_fma_f64 v[66:67], v[80:81], s[14:15], v[122:123]
	v_add_f64 v[14:15], v[14:15], v[86:87]
	v_add_f64 v[54:55], v[54:55], v[58:59]
	;; [unrolled: 1-line block ×3, first 2 shown]
	v_mul_f64 v[106:107], v[108:109], s[6:7]
	v_fma_f64 v[70:71], v[96:97], s[10:11], v[78:79]
	v_add_f64 v[92:93], v[12:13], v[102:103]
	v_fma_f64 v[78:79], v[96:97], s[10:11], -v[78:79]
	v_add_f64 v[12:13], v[12:13], v[90:91]
	v_fma_f64 v[166:167], v[64:65], s[28:29], v[158:159]
	v_add_f64 v[148:149], v[160:161], v[148:149]
	v_add_f64 v[134:135], v[146:147], v[134:135]
	v_mul_f64 v[146:147], v[100:101], s[38:39]
	v_add_f64 v[44:45], v[44:45], v[52:53]
	v_mul_f64 v[118:119], v[118:119], s[0:1]
	v_fma_f64 v[56:57], v[76:77], s[6:7], v[120:121]
	v_add_f64 v[14:15], v[66:67], v[14:15]
	v_add_f64 v[50:51], v[50:51], v[54:55]
	v_mul_f64 v[98:99], v[110:111], s[26:27]
	v_fma_f64 v[66:67], v[88:89], s[4:5], -v[106:107]
	v_add_f64 v[12:13], v[78:79], v[12:13]
	v_mul_f64 v[152:153], v[116:117], s[4:5]
	v_add_f64 v[148:149], v[166:167], v[148:149]
	v_fma_f64 v[166:167], v[62:63], s[4:5], v[146:147]
	v_fma_f64 v[142:143], v[80:81], s[26:27], v[142:143]
	v_fma_f64 v[154:155], v[96:97], s[0:1], -v[154:155]
	v_add_f64 v[40:41], v[40:41], v[44:45]
	v_mul_f64 v[116:117], v[116:117], s[8:9]
	v_fma_f64 v[52:53], v[64:65], s[26:27], v[118:119]
	v_add_f64 v[14:15], v[56:57], v[14:15]
	v_add_f64 v[42:43], v[42:43], v[50:51]
	v_fma_f64 v[136:137], v[48:49], s[8:9], -v[132:133]
	v_mul_f64 v[100:101], v[100:101], s[28:29]
	v_fma_f64 v[56:57], v[72:73], s[0:1], -v[98:99]
	v_add_f64 v[12:13], v[66:67], v[12:13]
	v_fma_f64 v[160:161], v[60:61], s[6:7], v[152:153]
	v_add_f64 v[156:157], v[166:167], v[156:157]
	v_fma_f64 v[140:141], v[76:77], s[30:31], v[140:141]
	v_fma_f64 v[166:167], v[80:81], s[40:41], v[122:123]
	v_add_f64 v[142:143], v[142:143], v[144:145]
	v_fma_f64 v[144:145], v[60:61], s[38:39], v[152:153]
	v_fma_f64 v[152:153], v[88:89], s[18:19], -v[162:163]
	v_add_f64 v[150:151], v[154:155], v[150:151]
	v_add_f64 v[36:37], v[36:37], v[40:41]
	;; [unrolled: 1-line block ×3, first 2 shown]
	v_mul_f64 v[138:139], v[104:105], s[20:21]
	v_mul_f64 v[104:105], v[104:105], s[18:19]
	v_fma_f64 v[44:45], v[60:61], s[28:29], v[116:117]
	v_add_f64 v[14:15], v[52:53], v[14:15]
	v_add_f64 v[38:39], v[38:39], v[42:43]
	;; [unrolled: 1-line block ×3, first 2 shown]
	v_mul_f64 v[134:135], v[94:95], s[36:37]
	v_mul_f64 v[94:95], v[94:95], s[30:31]
	v_fma_f64 v[52:53], v[62:63], s[8:9], -v[100:101]
	v_add_f64 v[12:13], v[56:57], v[12:13]
	v_fma_f64 v[154:155], v[64:65], s[24:25], v[158:159]
	v_fma_f64 v[158:159], v[76:77], s[38:39], v[120:121]
	v_add_f64 v[162:163], v[166:167], v[164:165]
	v_add_f64 v[140:141], v[140:141], v[142:143]
	v_fma_f64 v[142:143], v[72:73], s[8:9], -v[168:169]
	v_add_f64 v[150:151], v[152:153], v[150:151]
	v_add_f64 v[36:37], v[32:33], v[36:37]
	v_fma_f64 v[40:41], v[46:47], s[30:31], v[104:105]
	v_add_f64 v[14:15], v[44:45], v[14:15]
	v_add_f64 v[34:35], v[34:35], v[38:39]
	v_fma_f64 v[54:55], v[72:73], s[0:1], v[98:99]
	v_mad_u64_u32 v[38:39], s[0:1], s2, v200, 0
	v_fma_f64 v[44:45], v[48:49], s[18:19], -v[94:95]
	v_add_f64 v[12:13], v[52:53], v[12:13]
	v_fma_f64 v[152:153], v[64:65], s[16:17], v[118:119]
	v_add_f64 v[158:159], v[158:159], v[162:163]
	v_add_f64 v[140:141], v[154:155], v[140:141]
	v_fma_f64 v[146:147], v[62:63], s[4:5], -v[146:147]
	v_add_f64 v[114:115], v[142:143], v[150:151]
	v_mov_b32_e32 v32, v39
	v_add_f64 v[30:31], v[30:31], v[36:37]
	v_add_u32_e32 v36, 0x82, v200
	v_add_f64 v[14:15], v[40:41], v[14:15]
	v_mad_u64_u32 v[39:40], s[0:1], s3, v200, v[32:33]
	v_add_f64 v[32:33], v[28:29], v[34:35]
	v_mad_u64_u32 v[34:35], s[0:1], s2, v36, 0
	v_mov_b32_e32 v28, s13
	v_add_co_u32_e32 v40, vcc, s12, v68
	v_add_f64 v[12:13], v[44:45], v[12:13]
	v_addc_co_u32_e32 v41, vcc, v28, v69, vcc
	v_lshlrev_b64 v[28:29], 4, v[38:39]
	v_mad_u64_u32 v[35:36], s[0:1], s3, v36, v[35:36]
	v_fma_f64 v[136:137], v[46:47], s[22:23], v[138:139]
	v_add_f64 v[148:149], v[160:161], v[148:149]
	v_fma_f64 v[160:161], v[48:49], s[20:21], v[134:135]
	v_fma_f64 v[112:113], v[60:61], s[24:25], v[116:117]
	v_add_f64 v[142:143], v[152:153], v[158:159]
	v_fma_f64 v[138:139], v[46:47], s[36:37], v[138:139]
	v_add_f64 v[140:141], v[144:145], v[140:141]
	v_fma_f64 v[134:135], v[48:49], s[20:21], -v[134:135]
	v_add_f64 v[144:145], v[146:147], v[114:115]
	v_add_co_u32_e32 v28, vcc, v40, v28
	v_addc_co_u32_e32 v29, vcc, v41, v29, vcc
	v_add_u32_e32 v38, 0x104, v200
	v_mad_u64_u32 v[36:37], s[0:1], s2, v38, 0
	global_store_dwordx4 v[28:29], v[30:33], off
	v_lshlrev_b64 v[28:29], 4, v[34:35]
	v_mov_b32_e32 v30, v37
	v_add_co_u32_e32 v28, vcc, v40, v28
	v_addc_co_u32_e32 v29, vcc, v41, v29, vcc
	global_store_dwordx4 v[28:29], v[12:15], off
	v_add_u32_e32 v28, 0x186, v200
	v_mad_u64_u32 v[30:31], s[0:1], s3, v38, v[30:31]
	v_mad_u64_u32 v[14:15], s[0:1], s2, v28, 0
	v_add_f64 v[142:143], v[112:113], v[142:143]
	v_add_f64 v[114:115], v[138:139], v[140:141]
	;; [unrolled: 1-line block ×3, first 2 shown]
	v_mov_b32_e32 v37, v30
	v_mad_u64_u32 v[28:29], s[0:1], s3, v28, v[15:16]
	v_add_u32_e32 v31, 0x208, v200
	v_lshlrev_b64 v[12:13], 4, v[36:37]
	v_mad_u64_u32 v[29:30], s[0:1], s2, v31, 0
	v_add_co_u32_e32 v12, vcc, v40, v12
	v_addc_co_u32_e32 v13, vcc, v41, v13, vcc
	v_mov_b32_e32 v15, v28
	global_store_dwordx4 v[12:13], v[112:115], off
	v_lshlrev_b64 v[12:13], 4, v[14:15]
	v_mov_b32_e32 v14, v30
	v_mad_u64_u32 v[14:15], s[0:1], s3, v31, v[14:15]
	v_add_u32_e32 v28, 0x28a, v200
	v_add_co_u32_e32 v12, vcc, v40, v12
	v_mov_b32_e32 v30, v14
	v_mad_u64_u32 v[14:15], s[0:1], s2, v28, 0
	v_addc_co_u32_e32 v13, vcc, v41, v13, vcc
	global_store_dwordx4 v[12:13], v[130:133], off
	v_lshlrev_b64 v[12:13], 4, v[29:30]
	v_mad_u64_u32 v[28:29], s[0:1], s3, v28, v[15:16]
	v_add_u32_e32 v31, 0x30c, v200
	v_mad_u64_u32 v[29:30], s[0:1], s2, v31, 0
	v_add_co_u32_e32 v12, vcc, v40, v12
	v_addc_co_u32_e32 v13, vcc, v41, v13, vcc
	v_mov_b32_e32 v15, v28
	global_store_dwordx4 v[12:13], v[126:129], off
	v_lshlrev_b64 v[12:13], 4, v[14:15]
	v_mov_b32_e32 v14, v30
	v_mad_u64_u32 v[14:15], s[0:1], s3, v31, v[14:15]
	v_add_co_u32_e32 v12, vcc, v40, v12
	v_addc_co_u32_e32 v13, vcc, v41, v13, vcc
	global_store_dwordx4 v[12:13], v[20:23], off
	v_mov_b32_e32 v30, v14
	v_add_u32_e32 v20, 0x38e, v200
	v_mad_u64_u32 v[14:15], s[0:1], s2, v20, 0
	v_lshlrev_b64 v[12:13], 4, v[29:30]
	v_add_u32_e32 v23, 0x410, v200
	v_mad_u64_u32 v[20:21], s[0:1], s3, v20, v[15:16]
	v_add_co_u32_e32 v12, vcc, v40, v12
	v_addc_co_u32_e32 v13, vcc, v41, v13, vcc
	v_mov_b32_e32 v15, v20
	v_fma_f64 v[58:59], v[88:89], s[4:5], v[106:107]
	v_add_f64 v[70:71], v[70:71], v[92:93]
	v_mad_u64_u32 v[21:22], s[0:1], s2, v23, 0
	global_store_dwordx4 v[12:13], v[4:7], off
	v_fma_f64 v[50:51], v[62:63], s[8:9], v[100:101]
	v_lshlrev_b64 v[4:5], 4, v[14:15]
	v_mov_b32_e32 v6, v22
	v_add_co_u32_e32 v4, vcc, v40, v4
	v_addc_co_u32_e32 v5, vcc, v41, v5, vcc
	global_store_dwordx4 v[4:5], v[0:3], off
	v_add_u32_e32 v4, 0x492, v200
	v_mad_u64_u32 v[6:7], s[0:1], s3, v23, v[6:7]
	v_mad_u64_u32 v[2:3], s[0:1], s2, v4, 0
	v_add_f64 v[58:59], v[58:59], v[70:71]
	v_mov_b32_e32 v22, v6
	v_mad_u64_u32 v[3:4], s[0:1], s3, v4, v[3:4]
	v_add_u32_e32 v6, 0x514, v200
	v_lshlrev_b64 v[0:1], 4, v[21:22]
	v_mad_u64_u32 v[4:5], s[0:1], s2, v6, 0
	v_add_co_u32_e32 v0, vcc, v40, v0
	v_addc_co_u32_e32 v1, vcc, v41, v1, vcc
	global_store_dwordx4 v[0:1], v[8:11], off
	v_lshlrev_b64 v[0:1], 4, v[2:3]
	v_mov_b32_e32 v2, v5
	v_mad_u64_u32 v[2:3], s[0:1], s3, v6, v[2:3]
	v_add_f64 v[54:55], v[54:55], v[58:59]
	v_add_co_u32_e32 v0, vcc, v40, v0
	v_addc_co_u32_e32 v1, vcc, v41, v1, vcc
	v_mov_b32_e32 v5, v2
	global_store_dwordx4 v[0:1], v[16:19], off
	v_lshlrev_b64 v[0:1], 4, v[4:5]
	v_add_u32_e32 v4, 0x596, v200
	v_mad_u64_u32 v[2:3], s[0:1], s2, v4, 0
	v_fma_f64 v[146:147], v[46:47], s[34:35], v[104:105]
	v_fma_f64 v[42:43], v[48:49], s[18:19], v[94:95]
	v_add_f64 v[50:51], v[50:51], v[54:55]
	v_mad_u64_u32 v[3:4], s[0:1], s3, v4, v[3:4]
	v_add_u32_e32 v6, 0x618, v200
	v_mad_u64_u32 v[4:5], s[0:1], s2, v6, 0
	v_add_f64 v[84:85], v[136:137], v[148:149]
	v_add_f64 v[82:83], v[160:161], v[156:157]
	v_add_co_u32_e32 v0, vcc, v40, v0
	v_addc_co_u32_e32 v1, vcc, v41, v1, vcc
	global_store_dwordx4 v[0:1], v[24:27], off
	v_lshlrev_b64 v[0:1], 4, v[2:3]
	v_mov_b32_e32 v2, v5
	v_mad_u64_u32 v[2:3], s[0:1], s3, v6, v[2:3]
	v_add_f64 v[74:75], v[146:147], v[142:143]
	v_add_f64 v[72:73], v[42:43], v[50:51]
	v_add_co_u32_e32 v0, vcc, v40, v0
	v_addc_co_u32_e32 v1, vcc, v41, v1, vcc
	v_mov_b32_e32 v5, v2
	global_store_dwordx4 v[0:1], v[82:85], off
	v_lshlrev_b64 v[0:1], 4, v[4:5]
	v_add_co_u32_e32 v0, vcc, v40, v0
	v_addc_co_u32_e32 v1, vcc, v41, v1, vcc
	global_store_dwordx4 v[0:1], v[72:75], off
	s_endpgm
	.section	.rodata,"a",@progbits
	.p2align	6, 0x0
	.amdhsa_kernel fft_rtc_fwd_len1690_factors_13_10_13_wgs_169_tpt_169_dp_ip_CI_sbrr_dirReg
		.amdhsa_group_segment_fixed_size 0
		.amdhsa_private_segment_fixed_size 0
		.amdhsa_kernarg_size 88
		.amdhsa_user_sgpr_count 6
		.amdhsa_user_sgpr_private_segment_buffer 1
		.amdhsa_user_sgpr_dispatch_ptr 0
		.amdhsa_user_sgpr_queue_ptr 0
		.amdhsa_user_sgpr_kernarg_segment_ptr 1
		.amdhsa_user_sgpr_dispatch_id 0
		.amdhsa_user_sgpr_flat_scratch_init 0
		.amdhsa_user_sgpr_private_segment_size 0
		.amdhsa_uses_dynamic_stack 0
		.amdhsa_system_sgpr_private_segment_wavefront_offset 0
		.amdhsa_system_sgpr_workgroup_id_x 1
		.amdhsa_system_sgpr_workgroup_id_y 0
		.amdhsa_system_sgpr_workgroup_id_z 0
		.amdhsa_system_sgpr_workgroup_info 0
		.amdhsa_system_vgpr_workitem_id 0
		.amdhsa_next_free_vgpr 255
		.amdhsa_next_free_sgpr 44
		.amdhsa_reserve_vcc 1
		.amdhsa_reserve_flat_scratch 0
		.amdhsa_float_round_mode_32 0
		.amdhsa_float_round_mode_16_64 0
		.amdhsa_float_denorm_mode_32 3
		.amdhsa_float_denorm_mode_16_64 3
		.amdhsa_dx10_clamp 1
		.amdhsa_ieee_mode 1
		.amdhsa_fp16_overflow 0
		.amdhsa_exception_fp_ieee_invalid_op 0
		.amdhsa_exception_fp_denorm_src 0
		.amdhsa_exception_fp_ieee_div_zero 0
		.amdhsa_exception_fp_ieee_overflow 0
		.amdhsa_exception_fp_ieee_underflow 0
		.amdhsa_exception_fp_ieee_inexact 0
		.amdhsa_exception_int_div_zero 0
	.end_amdhsa_kernel
	.text
.Lfunc_end0:
	.size	fft_rtc_fwd_len1690_factors_13_10_13_wgs_169_tpt_169_dp_ip_CI_sbrr_dirReg, .Lfunc_end0-fft_rtc_fwd_len1690_factors_13_10_13_wgs_169_tpt_169_dp_ip_CI_sbrr_dirReg
                                        ; -- End function
	.section	.AMDGPU.csdata,"",@progbits
; Kernel info:
; codeLenInByte = 12624
; NumSgprs: 48
; NumVgprs: 255
; ScratchSize: 0
; MemoryBound: 1
; FloatMode: 240
; IeeeMode: 1
; LDSByteSize: 0 bytes/workgroup (compile time only)
; SGPRBlocks: 5
; VGPRBlocks: 63
; NumSGPRsForWavesPerEU: 48
; NumVGPRsForWavesPerEU: 255
; Occupancy: 1
; WaveLimiterHint : 1
; COMPUTE_PGM_RSRC2:SCRATCH_EN: 0
; COMPUTE_PGM_RSRC2:USER_SGPR: 6
; COMPUTE_PGM_RSRC2:TRAP_HANDLER: 0
; COMPUTE_PGM_RSRC2:TGID_X_EN: 1
; COMPUTE_PGM_RSRC2:TGID_Y_EN: 0
; COMPUTE_PGM_RSRC2:TGID_Z_EN: 0
; COMPUTE_PGM_RSRC2:TIDIG_COMP_CNT: 0
	.type	__hip_cuid_619543f1571684cb,@object ; @__hip_cuid_619543f1571684cb
	.section	.bss,"aw",@nobits
	.globl	__hip_cuid_619543f1571684cb
__hip_cuid_619543f1571684cb:
	.byte	0                               ; 0x0
	.size	__hip_cuid_619543f1571684cb, 1

	.ident	"AMD clang version 19.0.0git (https://github.com/RadeonOpenCompute/llvm-project roc-6.4.0 25133 c7fe45cf4b819c5991fe208aaa96edf142730f1d)"
	.section	".note.GNU-stack","",@progbits
	.addrsig
	.addrsig_sym __hip_cuid_619543f1571684cb
	.amdgpu_metadata
---
amdhsa.kernels:
  - .args:
      - .actual_access:  read_only
        .address_space:  global
        .offset:         0
        .size:           8
        .value_kind:     global_buffer
      - .offset:         8
        .size:           8
        .value_kind:     by_value
      - .actual_access:  read_only
        .address_space:  global
        .offset:         16
        .size:           8
        .value_kind:     global_buffer
      - .actual_access:  read_only
        .address_space:  global
        .offset:         24
        .size:           8
        .value_kind:     global_buffer
      - .offset:         32
        .size:           8
        .value_kind:     by_value
      - .actual_access:  read_only
        .address_space:  global
        .offset:         40
        .size:           8
        .value_kind:     global_buffer
      - .actual_access:  read_only
        .address_space:  global
        .offset:         48
        .size:           8
        .value_kind:     global_buffer
      - .offset:         56
        .size:           4
        .value_kind:     by_value
      - .actual_access:  read_only
        .address_space:  global
        .offset:         64
        .size:           8
        .value_kind:     global_buffer
      - .actual_access:  read_only
        .address_space:  global
        .offset:         72
        .size:           8
        .value_kind:     global_buffer
      - .address_space:  global
        .offset:         80
        .size:           8
        .value_kind:     global_buffer
    .group_segment_fixed_size: 0
    .kernarg_segment_align: 8
    .kernarg_segment_size: 88
    .language:       OpenCL C
    .language_version:
      - 2
      - 0
    .max_flat_workgroup_size: 169
    .name:           fft_rtc_fwd_len1690_factors_13_10_13_wgs_169_tpt_169_dp_ip_CI_sbrr_dirReg
    .private_segment_fixed_size: 0
    .sgpr_count:     48
    .sgpr_spill_count: 0
    .symbol:         fft_rtc_fwd_len1690_factors_13_10_13_wgs_169_tpt_169_dp_ip_CI_sbrr_dirReg.kd
    .uniform_work_group_size: 1
    .uses_dynamic_stack: false
    .vgpr_count:     255
    .vgpr_spill_count: 0
    .wavefront_size: 64
amdhsa.target:   amdgcn-amd-amdhsa--gfx906
amdhsa.version:
  - 1
  - 2
...

	.end_amdgpu_metadata
